;; amdgpu-corpus repo=ROCm/rocFFT kind=compiled arch=gfx1100 opt=O3
	.text
	.amdgcn_target "amdgcn-amd-amdhsa--gfx1100"
	.amdhsa_code_object_version 6
	.protected	bluestein_single_back_len2401_dim1_dp_op_CI_CI ; -- Begin function bluestein_single_back_len2401_dim1_dp_op_CI_CI
	.globl	bluestein_single_back_len2401_dim1_dp_op_CI_CI
	.p2align	8
	.type	bluestein_single_back_len2401_dim1_dp_op_CI_CI,@function
bluestein_single_back_len2401_dim1_dp_op_CI_CI: ; @bluestein_single_back_len2401_dim1_dp_op_CI_CI
; %bb.0:
	s_load_b128 s[16:19], s[0:1], 0x28
	v_mul_u32_u24_e32 v1, 0x53a, v0
	s_mov_b32 s2, exec_lo
	v_mov_b32_e32 v2, 0
	s_delay_alu instid0(VALU_DEP_2) | instskip(NEXT) | instid1(VALU_DEP_1)
	v_lshrrev_b32_e32 v3, 16, v1
	v_add_nc_u32_e32 v1, s15, v3
	s_waitcnt lgkmcnt(0)
	s_delay_alu instid0(VALU_DEP_1)
	v_cmpx_gt_u64_e64 s[16:17], v[1:2]
	s_cbranch_execz .LBB0_2
; %bb.1:
	s_clause 0x2
	s_load_b128 s[4:7], s[0:1], 0x0
	s_load_b128 s[20:23], s[0:1], 0x18
	s_load_b64 s[12:13], s[0:1], 0x38
	v_mul_lo_u16 v2, v3, 49
	s_mov_b32 s26, 0x37e14327
	s_mov_b32 s27, 0x3fe948f6
	;; [unrolled: 1-line block ×4, first 2 shown]
	v_sub_nc_u16 v202, v0, v2
	s_mov_b32 s25, 0x3febfeb5
	s_mov_b32 s17, 0xbfe77f67
	;; [unrolled: 1-line block ×3, first 2 shown]
	s_waitcnt lgkmcnt(0)
	s_load_b128 s[8:11], s[20:21], 0x0
	s_load_b128 s[0:3], s[22:23], 0x0
	s_mov_b32 s23, 0xbfe11646
	s_mov_b32 s22, 0xe976ee23
	;; [unrolled: 1-line block ×4, first 2 shown]
	s_waitcnt lgkmcnt(0)
	v_mad_u64_u32 v[4:5], null, s2, v1, 0
	s_delay_alu instid0(VALU_DEP_1) | instskip(NEXT) | instid1(VALU_DEP_1)
	v_mov_b32_e32 v0, v5
	v_mad_u64_u32 v[2:3], null, s3, v1, v[0:1]
	v_and_b32_e32 v6, 0xffff, v202
	s_mul_hi_u32 s3, s8, 0x1570
	s_delay_alu instid0(VALU_DEP_2) | instskip(NEXT) | instid1(VALU_DEP_2)
	v_mov_b32_e32 v5, v2
	v_mov_b32_e32 v26, v6
	v_mad_u64_u32 v[2:3], null, s10, v1, 0
	s_mul_hi_u32 s10, s8, 0xffff8270
	scratch_store_b64 off, v[4:5], off offset:20 ; 8-byte Folded Spill
	v_lshlrev_b32_e32 v196, 4, v26
	s_sub_i32 s10, s10, s8
	s_delay_alu instid0(VALU_DEP_1) | instskip(NEXT) | instid1(VALU_DEP_1)
	v_add_co_u32 v197, s2, s4, v196
	v_add_co_ci_u32_e64 v16, null, s5, 0, s2
	global_load_b128 v[10:13], v196, s[4:5]
	s_mul_i32 s2, s9, 0x1570
	v_mov_b32_e32 v18, v16
	s_add_i32 s2, s3, s2
	s_mul_i32 s3, s8, 0x1570
	s_delay_alu instid0(VALU_DEP_1) | instskip(NEXT) | instid1(VALU_DEP_1)
	v_mov_b32_e32 v22, v18
	v_dual_mov_b32 v0, v3 :: v_dual_mov_b32 v27, v22
	s_delay_alu instid0(VALU_DEP_1) | instskip(SKIP_2) | instid1(VALU_DEP_3)
	v_mad_u64_u32 v[3:4], null, s11, v1, v[0:1]
	v_mad_u64_u32 v[0:1], null, s8, v6, 0
	s_mulk_i32 s8, 0x8270
	v_mov_b32_e32 v31, v27
	v_add_co_u32 v215, null, v26, 49
	v_add_co_u32 v216, null, 0x62, v26
	s_delay_alu instid0(VALU_DEP_4)
	v_mad_u64_u32 v[4:5], null, s9, v6, v[1:2]
	v_lshlrev_b64 v[2:3], 4, v[2:3]
	s_mulk_i32 s9, 0x8270
	v_add_co_u32 v220, null, 0x93, v26
	s_add_i32 s9, s10, s9
	v_add_co_u32 v219, null, 0xc4, v26
	s_delay_alu instid0(VALU_DEP_4) | instskip(SKIP_2) | instid1(VALU_DEP_3)
	v_mov_b32_e32 v1, v4
	v_add_co_u32 v2, vcc_lo, s18, v2
	v_add_co_ci_u32_e32 v3, vcc_lo, s19, v3, vcc_lo
	v_lshlrev_b64 v[0:1], 4, v[0:1]
	s_mov_b32 s10, 0xb247c609
	s_mov_b32 s11, 0x3fd5d0dc
	;; [unrolled: 1-line block ×4, first 2 shown]
	s_delay_alu instid0(VALU_DEP_1)
	v_add_co_u32 v8, vcc_lo, v2, v0
	v_add_co_ci_u32_e32 v9, vcc_lo, v3, v1, vcc_lo
	global_load_b128 v[0:3], v[8:9], off
	v_add_co_u32 v8, vcc_lo, v8, s3
	v_add_co_ci_u32_e32 v9, vcc_lo, s2, v9, vcc_lo
	s_waitcnt vmcnt(1)
	scratch_store_b128 off, v[10:13], off offset:124 ; 16-byte Folded Spill
	s_waitcnt vmcnt(0)
	v_mul_f64 v[4:5], v[2:3], v[12:13]
	s_delay_alu instid0(VALU_DEP_1) | instskip(SKIP_1) | instid1(VALU_DEP_1)
	v_fma_f64 v[4:5], v[0:1], v[10:11], v[4:5]
	v_mul_f64 v[0:1], v[0:1], v[12:13]
	v_fma_f64 v[6:7], v[2:3], v[10:11], -v[0:1]
	v_add_co_u32 v10, vcc_lo, 0x1000, v197
	v_add_co_ci_u32_e32 v11, vcc_lo, 0, v16, vcc_lo
	global_load_b128 v[0:3], v[8:9], off
	global_load_b128 v[12:15], v[10:11], off offset:1392
	ds_store_b128 v196, v[4:7]
	s_waitcnt vmcnt(0)
	v_mul_f64 v[4:5], v[2:3], v[14:15]
	scratch_store_b128 off, v[12:15], off offset:76 ; 16-byte Folded Spill
	v_fma_f64 v[4:5], v[0:1], v[12:13], v[4:5]
	v_mul_f64 v[0:1], v[0:1], v[14:15]
	s_delay_alu instid0(VALU_DEP_1)
	v_fma_f64 v[6:7], v[2:3], v[12:13], -v[0:1]
	v_add_co_u32 v12, vcc_lo, v8, s3
	v_add_co_ci_u32_e32 v13, vcc_lo, s2, v9, vcc_lo
	v_add_co_u32 v8, vcc_lo, 0x2000, v197
	v_add_co_ci_u32_e32 v9, vcc_lo, 0, v16, vcc_lo
	global_load_b128 v[0:3], v[12:13], off
	global_load_b128 v[14:17], v[8:9], off offset:2784
	ds_store_b128 v196, v[4:7] offset:5488
	s_waitcnt vmcnt(0)
	v_mul_f64 v[4:5], v[2:3], v[16:17]
	scratch_store_b128 off, v[14:17], off offset:28 ; 16-byte Folded Spill
	v_fma_f64 v[4:5], v[0:1], v[14:15], v[4:5]
	v_mul_f64 v[0:1], v[0:1], v[16:17]
	s_delay_alu instid0(VALU_DEP_1)
	v_fma_f64 v[6:7], v[2:3], v[14:15], -v[0:1]
	ds_store_b128 v196, v[4:7] offset:10976
	v_add_co_u32 v6, vcc_lo, v12, s3
	v_add_co_ci_u32_e32 v7, vcc_lo, s2, v13, vcc_lo
	v_add_co_u32 v0, vcc_lo, 0x4000, v197
	v_add_co_ci_u32_e32 v1, vcc_lo, 0, v18, vcc_lo
	global_load_b128 v[2:5], v[6:7], off
	global_load_b128 v[14:17], v[0:1], off offset:80
	s_waitcnt vmcnt(0)
	v_mul_f64 v[12:13], v[4:5], v[16:17]
	scratch_store_b128 off, v[14:17], off offset:44 ; 16-byte Folded Spill
	v_fma_f64 v[12:13], v[2:3], v[14:15], v[12:13]
	v_mul_f64 v[2:3], v[2:3], v[16:17]
	v_add_co_u32 v16, vcc_lo, v6, s3
	v_add_co_ci_u32_e32 v17, vcc_lo, s2, v7, vcc_lo
	v_add_co_u32 v6, vcc_lo, 0x5000, v197
	v_add_co_ci_u32_e32 v7, vcc_lo, 0, v22, vcc_lo
	global_load_b128 v[18:21], v[6:7], off offset:1472
	v_fma_f64 v[14:15], v[4:5], v[14:15], -v[2:3]
	global_load_b128 v[2:5], v[16:17], off
	ds_store_b128 v196, v[12:15] offset:16464
	s_waitcnt vmcnt(1)
	scratch_store_b128 off, v[18:21], off offset:60 ; 16-byte Folded Spill
	s_waitcnt vmcnt(0)
	v_mul_f64 v[12:13], v[4:5], v[20:21]
	s_delay_alu instid0(VALU_DEP_1) | instskip(SKIP_1) | instid1(VALU_DEP_1)
	v_fma_f64 v[12:13], v[2:3], v[18:19], v[12:13]
	v_mul_f64 v[2:3], v[2:3], v[20:21]
	v_fma_f64 v[14:15], v[4:5], v[18:19], -v[2:3]
	v_add_co_u32 v2, vcc_lo, v16, s3
	v_add_co_ci_u32_e32 v3, vcc_lo, s2, v17, vcc_lo
	v_add_co_u32 v4, vcc_lo, 0x6000, v197
	v_add_co_ci_u32_e32 v5, vcc_lo, 0, v22, vcc_lo
	global_load_b128 v[18:21], v[4:5], off offset:2864
	ds_store_b128 v196, v[12:15] offset:21952
	global_load_b128 v[12:15], v[2:3], off
	s_waitcnt vmcnt(1)
	scratch_store_b128 off, v[18:21], off offset:92 ; 16-byte Folded Spill
	s_waitcnt vmcnt(0)
	v_mul_f64 v[16:17], v[14:15], v[20:21]
	s_delay_alu instid0(VALU_DEP_1)
	v_fma_f64 v[16:17], v[12:13], v[18:19], v[16:17]
	v_mul_f64 v[12:13], v[12:13], v[20:21]
	v_add_co_u32 v20, vcc_lo, v2, s3
	v_add_co_ci_u32_e32 v21, vcc_lo, s2, v3, vcc_lo
	v_add_co_u32 v2, vcc_lo, 0x8000, v197
	v_add_co_ci_u32_e32 v3, vcc_lo, 0, v22, vcc_lo
	global_load_b128 v[22:25], v[2:3], off offset:160
	v_fma_f64 v[18:19], v[14:15], v[18:19], -v[12:13]
	global_load_b128 v[12:15], v[20:21], off
	v_add_co_u32 v20, vcc_lo, v20, s8
	v_add_co_ci_u32_e32 v21, vcc_lo, s9, v21, vcc_lo
	ds_store_b128 v196, v[16:19] offset:27440
	s_waitcnt vmcnt(1)
	scratch_store_b128 off, v[22:25], off offset:108 ; 16-byte Folded Spill
	s_waitcnt vmcnt(0)
	v_mul_f64 v[16:17], v[14:15], v[24:25]
	s_delay_alu instid0(VALU_DEP_1) | instskip(SKIP_1) | instid1(VALU_DEP_1)
	v_fma_f64 v[16:17], v[12:13], v[22:23], v[16:17]
	v_mul_f64 v[12:13], v[12:13], v[24:25]
	v_fma_f64 v[18:19], v[14:15], v[22:23], -v[12:13]
	ds_store_b128 v196, v[16:19] offset:32928
	global_load_b128 v[12:15], v[20:21], off
	global_load_b128 v[22:25], v196, s[4:5] offset:784
	v_add_co_u32 v20, vcc_lo, v20, s3
	v_add_co_ci_u32_e32 v21, vcc_lo, s2, v21, vcc_lo
	s_waitcnt vmcnt(0)
	v_mul_f64 v[16:17], v[14:15], v[24:25]
	scratch_store_b128 off, v[22:25], off offset:140 ; 16-byte Folded Spill
	v_fma_f64 v[16:17], v[12:13], v[22:23], v[16:17]
	v_mul_f64 v[12:13], v[12:13], v[24:25]
	s_delay_alu instid0(VALU_DEP_1)
	v_fma_f64 v[18:19], v[14:15], v[22:23], -v[12:13]
	ds_store_b128 v196, v[16:19] offset:784
	global_load_b128 v[12:15], v[20:21], off
	global_load_b128 v[22:25], v[10:11], off offset:2176
	v_add_co_u32 v20, vcc_lo, v20, s3
	v_add_co_ci_u32_e32 v21, vcc_lo, s2, v21, vcc_lo
	s_waitcnt vmcnt(0)
	v_mul_f64 v[16:17], v[14:15], v[24:25]
	scratch_store_b128 off, v[22:25], off offset:156 ; 16-byte Folded Spill
	v_fma_f64 v[16:17], v[12:13], v[22:23], v[16:17]
	v_mul_f64 v[12:13], v[12:13], v[24:25]
	s_delay_alu instid0(VALU_DEP_1)
	v_fma_f64 v[18:19], v[14:15], v[22:23], -v[12:13]
	ds_store_b128 v196, v[16:19] offset:6272
	global_load_b128 v[12:15], v[20:21], off
	global_load_b128 v[22:25], v[8:9], off offset:3568
	;; [unrolled: 12-line block ×6, first 2 shown]
	v_add_co_u32 v20, vcc_lo, v20, s8
	v_add_co_ci_u32_e32 v21, vcc_lo, s9, v21, vcc_lo
	s_waitcnt vmcnt(0)
	v_mul_f64 v[16:17], v[14:15], v[24:25]
	scratch_store_b128 off, v[22:25], off offset:236 ; 16-byte Folded Spill
	v_fma_f64 v[16:17], v[12:13], v[22:23], v[16:17]
	v_mul_f64 v[12:13], v[12:13], v[24:25]
	s_delay_alu instid0(VALU_DEP_1)
	v_fma_f64 v[18:19], v[14:15], v[22:23], -v[12:13]
	ds_store_b128 v196, v[16:19] offset:33712
	global_load_b128 v[12:15], v[20:21], off
	global_load_b128 v[22:25], v196, s[4:5] offset:1568
	v_add_co_u32 v20, vcc_lo, v20, s3
	v_add_co_ci_u32_e32 v21, vcc_lo, s2, v21, vcc_lo
	s_waitcnt vmcnt(0)
	v_mul_f64 v[16:17], v[14:15], v[24:25]
	scratch_store_b128 off, v[22:25], off offset:268 ; 16-byte Folded Spill
	v_fma_f64 v[16:17], v[12:13], v[22:23], v[16:17]
	v_mul_f64 v[12:13], v[12:13], v[24:25]
	s_delay_alu instid0(VALU_DEP_1)
	v_fma_f64 v[18:19], v[14:15], v[22:23], -v[12:13]
	ds_store_b128 v196, v[16:19] offset:1568
	global_load_b128 v[12:15], v[20:21], off
	global_load_b128 v[22:25], v[10:11], off offset:2960
	s_waitcnt vmcnt(0)
	v_mul_f64 v[16:17], v[14:15], v[24:25]
	scratch_store_b128 off, v[22:25], off offset:252 ; 16-byte Folded Spill
	v_fma_f64 v[16:17], v[12:13], v[22:23], v[16:17]
	v_mul_f64 v[12:13], v[12:13], v[24:25]
	s_delay_alu instid0(VALU_DEP_1)
	v_fma_f64 v[18:19], v[14:15], v[22:23], -v[12:13]
	v_add_co_u32 v12, vcc_lo, v20, s3
	v_add_co_ci_u32_e32 v13, vcc_lo, s2, v21, vcc_lo
	v_add_co_u32 v14, vcc_lo, 0x3000, v197
	v_add_co_ci_u32_e32 v15, vcc_lo, 0, v27, vcc_lo
	global_load_b128 v[22:25], v[14:15], off offset:256
	ds_store_b128 v196, v[16:19] offset:7056
	global_load_b128 v[16:19], v[12:13], off
	v_add_co_u32 v12, vcc_lo, v12, s3
	v_add_co_ci_u32_e32 v13, vcc_lo, s2, v13, vcc_lo
	s_waitcnt vmcnt(1)
	scratch_store_b128 off, v[22:25], off offset:284 ; 16-byte Folded Spill
	s_waitcnt vmcnt(0)
	v_mul_f64 v[20:21], v[18:19], v[24:25]
	s_delay_alu instid0(VALU_DEP_1) | instskip(SKIP_1) | instid1(VALU_DEP_1)
	v_fma_f64 v[20:21], v[16:17], v[22:23], v[20:21]
	v_mul_f64 v[16:17], v[16:17], v[24:25]
	v_fma_f64 v[22:23], v[18:19], v[22:23], -v[16:17]
	ds_store_b128 v196, v[20:23] offset:12544
	global_load_b128 v[16:19], v[12:13], off
	global_load_b128 v[22:25], v[0:1], off offset:1648
	v_add_co_u32 v12, vcc_lo, v12, s3
	v_add_co_ci_u32_e32 v13, vcc_lo, s2, v13, vcc_lo
	s_waitcnt vmcnt(0)
	v_mul_f64 v[20:21], v[18:19], v[24:25]
	scratch_store_b128 off, v[22:25], off offset:316 ; 16-byte Folded Spill
	v_fma_f64 v[20:21], v[16:17], v[22:23], v[20:21]
	v_mul_f64 v[16:17], v[16:17], v[24:25]
	s_delay_alu instid0(VALU_DEP_1)
	v_fma_f64 v[22:23], v[18:19], v[22:23], -v[16:17]
	ds_store_b128 v196, v[20:23] offset:18032
	global_load_b128 v[16:19], v[12:13], off
	global_load_b128 v[22:25], v[6:7], off offset:3040
	scratch_store_b32 off, v31, off offset:2764 ; 4-byte Folded Spill
	s_waitcnt vmcnt(0)
	v_mul_f64 v[20:21], v[18:19], v[24:25]
	scratch_store_b128 off, v[22:25], off offset:300 ; 16-byte Folded Spill
	v_fma_f64 v[20:21], v[16:17], v[22:23], v[20:21]
	v_mul_f64 v[16:17], v[16:17], v[24:25]
	v_add_co_u32 v24, vcc_lo, v12, s3
	v_add_co_ci_u32_e32 v25, vcc_lo, s2, v13, vcc_lo
	v_add_co_u32 v12, vcc_lo, 0x7000, v197
	v_add_co_ci_u32_e32 v13, vcc_lo, 0, v27, vcc_lo
	global_load_b128 v[27:30], v[12:13], off offset:336
	v_fma_f64 v[22:23], v[18:19], v[22:23], -v[16:17]
	global_load_b128 v[16:19], v[24:25], off
	v_add_co_u32 v24, vcc_lo, v24, s3
	v_add_co_ci_u32_e32 v25, vcc_lo, s2, v25, vcc_lo
	ds_store_b128 v196, v[20:23] offset:23520
	s_waitcnt vmcnt(1)
	scratch_store_b128 off, v[27:30], off offset:332 ; 16-byte Folded Spill
	s_waitcnt vmcnt(0)
	v_mul_f64 v[20:21], v[18:19], v[29:30]
	s_delay_alu instid0(VALU_DEP_1) | instskip(SKIP_1) | instid1(VALU_DEP_1)
	v_fma_f64 v[20:21], v[16:17], v[27:28], v[20:21]
	v_mul_f64 v[16:17], v[16:17], v[29:30]
	v_fma_f64 v[22:23], v[18:19], v[27:28], -v[16:17]
	ds_store_b128 v196, v[20:23] offset:29008
	global_load_b128 v[16:19], v[24:25], off
	global_load_b128 v[27:30], v[2:3], off offset:1728
	v_add_co_u32 v24, vcc_lo, v24, s8
	v_add_co_ci_u32_e32 v25, vcc_lo, s9, v25, vcc_lo
	s_waitcnt vmcnt(0)
	v_mul_f64 v[20:21], v[18:19], v[29:30]
	scratch_store_b128 off, v[27:30], off offset:668 ; 16-byte Folded Spill
	v_fma_f64 v[20:21], v[16:17], v[27:28], v[20:21]
	v_mul_f64 v[16:17], v[16:17], v[29:30]
	s_delay_alu instid0(VALU_DEP_1)
	v_fma_f64 v[22:23], v[18:19], v[27:28], -v[16:17]
	ds_store_b128 v196, v[20:23] offset:34496
	global_load_b128 v[16:19], v[24:25], off
	global_load_b128 v[27:30], v196, s[4:5] offset:2352
	v_add_co_u32 v24, vcc_lo, v24, s3
	v_add_co_ci_u32_e32 v25, vcc_lo, s2, v25, vcc_lo
	s_waitcnt vmcnt(0)
	v_mul_f64 v[20:21], v[18:19], v[29:30]
	scratch_store_b128 off, v[27:30], off offset:684 ; 16-byte Folded Spill
	v_fma_f64 v[20:21], v[16:17], v[27:28], v[20:21]
	v_mul_f64 v[16:17], v[16:17], v[29:30]
	s_delay_alu instid0(VALU_DEP_1)
	v_fma_f64 v[22:23], v[18:19], v[27:28], -v[16:17]
	ds_store_b128 v196, v[20:23] offset:2352
	global_load_b128 v[16:19], v[24:25], off
	global_load_b128 v[27:30], v[10:11], off offset:3744
	v_add_co_u32 v24, vcc_lo, v24, s3
	v_add_co_ci_u32_e32 v25, vcc_lo, s2, v25, vcc_lo
	s_waitcnt vmcnt(0)
	v_mul_f64 v[20:21], v[18:19], v[29:30]
	scratch_store_b128 off, v[27:30], off offset:652 ; 16-byte Folded Spill
	v_fma_f64 v[20:21], v[16:17], v[27:28], v[20:21]
	v_mul_f64 v[16:17], v[16:17], v[29:30]
	s_delay_alu instid0(VALU_DEP_1)
	v_fma_f64 v[22:23], v[18:19], v[27:28], -v[16:17]
	ds_store_b128 v196, v[20:23] offset:7840
	global_load_b128 v[16:19], v[24:25], off
	global_load_b128 v[27:30], v[14:15], off offset:1040
	;; [unrolled: 12-line block ×6, first 2 shown]
	v_add_co_u32 v24, vcc_lo, v24, s8
	v_add_co_ci_u32_e32 v25, vcc_lo, s9, v25, vcc_lo
	s_waitcnt vmcnt(0)
	v_mul_f64 v[20:21], v[18:19], v[29:30]
	scratch_store_b128 off, v[27:30], off offset:556 ; 16-byte Folded Spill
	v_fma_f64 v[20:21], v[16:17], v[27:28], v[20:21]
	v_mul_f64 v[16:17], v[16:17], v[29:30]
	v_mov_b32_e32 v30, v26
	s_delay_alu instid0(VALU_DEP_1) | instskip(SKIP_1) | instid1(VALU_DEP_4)
	v_add_co_u32 v218, null, 0xf5, v30
	v_add_co_u32 v217, null, 0x126, v30
	v_fma_f64 v[22:23], v[18:19], v[27:28], -v[16:17]
	ds_store_b128 v196, v[20:23] offset:35280
	global_load_b128 v[16:19], v[24:25], off
	global_load_b128 v[26:29], v196, s[4:5] offset:3136
	v_add_co_u32 v24, vcc_lo, v24, s3
	v_add_co_ci_u32_e32 v25, vcc_lo, s2, v25, vcc_lo
	s_waitcnt vmcnt(0)
	v_mul_f64 v[20:21], v[18:19], v[28:29]
	scratch_store_b128 off, v[26:29], off offset:572 ; 16-byte Folded Spill
	v_fma_f64 v[20:21], v[16:17], v[26:27], v[20:21]
	v_mul_f64 v[16:17], v[16:17], v[28:29]
	s_delay_alu instid0(VALU_DEP_1)
	v_fma_f64 v[22:23], v[18:19], v[26:27], -v[16:17]
	ds_store_b128 v196, v[20:23] offset:3136
	global_load_b128 v[16:19], v[24:25], off
	global_load_b128 v[26:29], v[8:9], off offset:432
	v_add_co_u32 v24, vcc_lo, v24, s3
	v_add_co_ci_u32_e32 v25, vcc_lo, s2, v25, vcc_lo
	s_waitcnt vmcnt(0)
	v_mul_f64 v[20:21], v[18:19], v[28:29]
	scratch_store_b128 off, v[26:29], off offset:540 ; 16-byte Folded Spill
	v_fma_f64 v[20:21], v[16:17], v[26:27], v[20:21]
	v_mul_f64 v[16:17], v[16:17], v[28:29]
	s_delay_alu instid0(VALU_DEP_1)
	v_fma_f64 v[22:23], v[18:19], v[26:27], -v[16:17]
	ds_store_b128 v196, v[20:23] offset:8624
	global_load_b128 v[16:19], v[24:25], off
	global_load_b128 v[26:29], v[14:15], off offset:1824
	;; [unrolled: 12-line block ×6, first 2 shown]
	v_add_co_u32 v24, vcc_lo, v24, s8
	v_add_co_ci_u32_e32 v25, vcc_lo, s9, v25, vcc_lo
	scratch_store_b32 off, v30, off         ; 4-byte Folded Spill
	s_waitcnt vmcnt(0)
	v_mul_f64 v[20:21], v[18:19], v[28:29]
	scratch_store_b128 off, v[26:29], off offset:444 ; 16-byte Folded Spill
	v_fma_f64 v[20:21], v[16:17], v[26:27], v[20:21]
	v_mul_f64 v[16:17], v[16:17], v[28:29]
	s_delay_alu instid0(VALU_DEP_1)
	v_fma_f64 v[22:23], v[18:19], v[26:27], -v[16:17]
	ds_store_b128 v196, v[20:23] offset:36064
	global_load_b128 v[16:19], v[24:25], off
	global_load_b128 v[26:29], v196, s[4:5] offset:3920
	v_add_co_u32 v24, vcc_lo, v24, s3
	v_add_co_ci_u32_e32 v25, vcc_lo, s2, v25, vcc_lo
	s_mov_b32 s4, 0x429ad128
	s_mov_b32 s5, 0xbfebfeb5
	;; [unrolled: 1-line block ×3, first 2 shown]
	s_waitcnt vmcnt(0)
	v_mul_f64 v[20:21], v[18:19], v[28:29]
	scratch_store_b128 off, v[26:29], off offset:460 ; 16-byte Folded Spill
	v_fma_f64 v[20:21], v[16:17], v[26:27], v[20:21]
	v_mul_f64 v[16:17], v[16:17], v[28:29]
	s_delay_alu instid0(VALU_DEP_1)
	v_fma_f64 v[22:23], v[18:19], v[26:27], -v[16:17]
	ds_store_b128 v196, v[20:23] offset:3920
	global_load_b128 v[16:19], v[24:25], off
	global_load_b128 v[26:29], v[8:9], off offset:1216
	v_add_co_u32 v24, vcc_lo, v24, s3
	v_add_co_ci_u32_e32 v25, vcc_lo, s2, v25, vcc_lo
	s_waitcnt vmcnt(0)
	v_mul_f64 v[20:21], v[18:19], v[28:29]
	scratch_store_b128 off, v[26:29], off offset:428 ; 16-byte Folded Spill
	v_fma_f64 v[20:21], v[16:17], v[26:27], v[20:21]
	v_mul_f64 v[16:17], v[16:17], v[28:29]
	s_delay_alu instid0(VALU_DEP_1)
	v_fma_f64 v[22:23], v[18:19], v[26:27], -v[16:17]
	ds_store_b128 v196, v[20:23] offset:9408
	global_load_b128 v[16:19], v[24:25], off
	global_load_b128 v[26:29], v[14:15], off offset:2608
	v_add_co_u32 v24, vcc_lo, v24, s3
	v_add_co_ci_u32_e32 v25, vcc_lo, s2, v25, vcc_lo
	s_waitcnt vmcnt(0)
	v_mul_f64 v[20:21], v[18:19], v[28:29]
	scratch_store_b128 off, v[26:29], off offset:412 ; 16-byte Folded Spill
	v_fma_f64 v[20:21], v[16:17], v[26:27], v[20:21]
	v_mul_f64 v[16:17], v[16:17], v[28:29]
	s_delay_alu instid0(VALU_DEP_1)
	v_fma_f64 v[22:23], v[18:19], v[26:27], -v[16:17]
	ds_store_b128 v196, v[20:23] offset:14896
	global_load_b128 v[16:19], v[24:25], off
	global_load_b128 v[26:29], v[0:1], off offset:4000
	s_waitcnt vmcnt(0)
	v_mul_f64 v[0:1], v[18:19], v[28:29]
	scratch_store_b128 off, v[26:29], off offset:396 ; 16-byte Folded Spill
	v_fma_f64 v[20:21], v[16:17], v[26:27], v[0:1]
	v_mul_f64 v[0:1], v[16:17], v[28:29]
	s_delay_alu instid0(VALU_DEP_1)
	v_fma_f64 v[22:23], v[18:19], v[26:27], -v[0:1]
	v_add_co_u32 v0, vcc_lo, v24, s3
	v_add_co_ci_u32_e32 v1, vcc_lo, s2, v25, vcc_lo
	ds_store_b128 v196, v[20:23] offset:20384
	global_load_b128 v[16:19], v[0:1], off
	global_load_b128 v[22:25], v[4:5], off offset:1296
	v_add_co_u32 v0, vcc_lo, v0, s3
	v_add_co_ci_u32_e32 v1, vcc_lo, s2, v1, vcc_lo
	s_waitcnt vmcnt(0)
	v_mul_f64 v[20:21], v[18:19], v[24:25]
	scratch_store_b128 off, v[22:25], off offset:380 ; 16-byte Folded Spill
	v_fma_f64 v[20:21], v[16:17], v[22:23], v[20:21]
	v_mul_f64 v[16:17], v[16:17], v[24:25]
	s_delay_alu instid0(VALU_DEP_1)
	v_fma_f64 v[22:23], v[18:19], v[22:23], -v[16:17]
	ds_store_b128 v196, v[20:23] offset:25872
	global_load_b128 v[16:19], v[0:1], off
	global_load_b128 v[22:25], v[12:13], off offset:2688
	s_waitcnt vmcnt(0)
	v_mul_f64 v[20:21], v[18:19], v[24:25]
	scratch_store_b128 off, v[22:25], off offset:364 ; 16-byte Folded Spill
	v_fma_f64 v[20:21], v[16:17], v[22:23], v[20:21]
	v_mul_f64 v[16:17], v[16:17], v[24:25]
	s_delay_alu instid0(VALU_DEP_1)
	v_fma_f64 v[22:23], v[18:19], v[22:23], -v[16:17]
	ds_store_b128 v196, v[20:23] offset:31360
	v_add_co_u32 v20, vcc_lo, v0, s3
	v_add_co_ci_u32_e32 v21, vcc_lo, s2, v1, vcc_lo
	global_load_b128 v[16:19], v[20:21], off
	global_load_b128 v[22:25], v[2:3], off offset:4080
	s_waitcnt vmcnt(0)
	v_mul_f64 v[0:1], v[18:19], v[24:25]
	v_mul_f64 v[2:3], v[16:17], v[24:25]
	scratch_store_b128 off, v[22:25], off offset:348 ; 16-byte Folded Spill
	v_fma_f64 v[0:1], v[16:17], v[22:23], v[0:1]
	v_fma_f64 v[2:3], v[18:19], v[22:23], -v[2:3]
	v_add_co_u32 v16, vcc_lo, v20, s8
	v_add_co_ci_u32_e32 v17, vcc_lo, s9, v21, vcc_lo
	s_mov_b32 s8, 0x36b3c0b5
	s_mov_b32 s9, 0x3fac98ee
	ds_store_b128 v196, v[0:3] offset:36848
	global_load_b128 v[0:3], v[16:17], off
	global_load_b128 v[20:23], v[10:11], off offset:608
	v_add_co_u32 v16, vcc_lo, v16, s3
	v_add_co_ci_u32_e32 v17, vcc_lo, s2, v17, vcc_lo
	s_waitcnt vmcnt(0)
	v_mul_f64 v[10:11], v[2:3], v[22:23]
	scratch_store_b128 off, v[20:23], off offset:700 ; 16-byte Folded Spill
	v_fma_f64 v[18:19], v[0:1], v[20:21], v[10:11]
	v_mul_f64 v[0:1], v[0:1], v[22:23]
	s_delay_alu instid0(VALU_DEP_1)
	v_fma_f64 v[20:21], v[2:3], v[20:21], -v[0:1]
	ds_store_b128 v196, v[18:21] offset:4704
	global_load_b128 v[0:3], v[16:17], off
	global_load_b128 v[18:21], v[8:9], off offset:2000
	v_add_co_u32 v16, vcc_lo, v16, s3
	v_add_co_ci_u32_e32 v17, vcc_lo, s2, v17, vcc_lo
	s_waitcnt vmcnt(0)
	v_mul_f64 v[8:9], v[2:3], v[20:21]
	scratch_store_b128 off, v[18:21], off offset:732 ; 16-byte Folded Spill
	v_fma_f64 v[8:9], v[0:1], v[18:19], v[8:9]
	v_mul_f64 v[0:1], v[0:1], v[20:21]
	s_delay_alu instid0(VALU_DEP_1)
	v_fma_f64 v[10:11], v[2:3], v[18:19], -v[0:1]
	ds_store_b128 v196, v[8:11] offset:10192
	global_load_b128 v[0:3], v[16:17], off
	global_load_b128 v[18:21], v[14:15], off offset:3392
	s_waitcnt vmcnt(0)
	v_mul_f64 v[8:9], v[2:3], v[20:21]
	scratch_store_b128 off, v[18:21], off offset:716 ; 16-byte Folded Spill
	v_fma_f64 v[8:9], v[0:1], v[18:19], v[8:9]
	v_mul_f64 v[0:1], v[0:1], v[20:21]
	s_delay_alu instid0(VALU_DEP_1)
	v_fma_f64 v[10:11], v[2:3], v[18:19], -v[0:1]
	ds_store_b128 v196, v[8:11] offset:15680
	v_add_co_u32 v10, vcc_lo, v16, s3
	v_add_co_ci_u32_e32 v11, vcc_lo, s2, v17, vcc_lo
	global_load_b128 v[0:3], v[10:11], off
	global_load_b128 v[14:17], v[6:7], off offset:688
	s_waitcnt vmcnt(0)
	v_mul_f64 v[6:7], v[2:3], v[16:17]
	scratch_store_b128 off, v[14:17], off offset:748 ; 16-byte Folded Spill
	v_fma_f64 v[6:7], v[0:1], v[14:15], v[6:7]
	v_mul_f64 v[0:1], v[0:1], v[16:17]
	s_delay_alu instid0(VALU_DEP_1)
	v_fma_f64 v[8:9], v[2:3], v[14:15], -v[0:1]
	ds_store_b128 v196, v[6:9] offset:21168
	v_add_co_u32 v6, vcc_lo, v10, s3
	v_add_co_ci_u32_e32 v7, vcc_lo, s2, v11, vcc_lo
	;; [unrolled: 12-line block ×3, first 2 shown]
	global_load_b128 v[0:3], v[8:9], off
	global_load_b128 v[10:13], v[12:13], off offset:3472
	s_waitcnt vmcnt(0)
	v_mul_f64 v[4:5], v[2:3], v[12:13]
	scratch_store_b128 off, v[10:13], off offset:780 ; 16-byte Folded Spill
	v_fma_f64 v[4:5], v[0:1], v[10:11], v[4:5]
	v_mul_f64 v[0:1], v[0:1], v[12:13]
	s_delay_alu instid0(VALU_DEP_1)
	v_fma_f64 v[6:7], v[2:3], v[10:11], -v[0:1]
	v_add_co_u32 v0, vcc_lo, v8, s3
	v_add_co_ci_u32_e32 v1, vcc_lo, s2, v9, vcc_lo
	s_mov_b32 s3, 0x3fdc38aa
	s_mov_b32 s2, 0x37c3f68c
	global_load_b128 v[0:3], v[0:1], off
	ds_store_b128 v196, v[4:7] offset:32144
	v_add_co_u32 v4, vcc_lo, 0x9000, v197
	v_add_co_ci_u32_e32 v5, vcc_lo, 0, v31, vcc_lo
	global_load_b128 v[6:9], v[4:5], off offset:768
	scratch_store_b64 off, v[4:5], off offset:2756 ; 8-byte Folded Spill
	s_waitcnt vmcnt(0)
	v_mul_f64 v[4:5], v[2:3], v[8:9]
	scratch_store_b128 off, v[6:9], off offset:4 ; 16-byte Folded Spill
	v_fma_f64 v[4:5], v[0:1], v[6:7], v[4:5]
	v_mul_f64 v[0:1], v[0:1], v[8:9]
	s_delay_alu instid0(VALU_DEP_1)
	v_fma_f64 v[6:7], v[2:3], v[6:7], -v[0:1]
	ds_store_b128 v196, v[4:7] offset:37632
	s_waitcnt lgkmcnt(0)
	s_waitcnt_vscnt null, 0x0
	s_barrier
	buffer_gl0_inv
	ds_load_b128 v[4:7], v196
	ds_load_b128 v[24:27], v196 offset:5488
	ds_load_b128 v[16:19], v196 offset:10976
	;; [unrolled: 1-line block ×48, first 2 shown]
	s_waitcnt lgkmcnt(42)
	v_add_f64 v[200:201], v[26:27], v[30:31]
	v_add_f64 v[26:27], v[26:27], -v[30:31]
	v_add_f64 v[30:31], v[18:19], v[22:23]
	v_add_f64 v[198:199], v[24:25], v[28:29]
	v_add_f64 v[24:25], v[24:25], -v[28:29]
	v_add_f64 v[28:29], v[16:17], v[20:21]
	v_add_f64 v[16:17], v[16:17], -v[20:21]
	v_add_f64 v[18:19], v[18:19], -v[22:23]
	v_add_f64 v[20:21], v[8:9], v[12:13]
	v_add_f64 v[22:23], v[10:11], v[14:15]
	v_add_f64 v[8:9], v[12:13], -v[8:9]
	v_add_f64 v[10:11], v[14:15], -v[10:11]
	s_waitcnt lgkmcnt(0)
	s_barrier
	buffer_gl0_inv
	v_add_f64 v[14:15], v[30:31], v[200:201]
	v_add_f64 v[205:206], v[30:31], -v[200:201]
	v_add_f64 v[12:13], v[28:29], v[198:199]
	v_add_f64 v[203:204], v[28:29], -v[198:199]
	v_add_f64 v[198:199], v[198:199], -v[20:21]
	;; [unrolled: 1-line block ×4, first 2 shown]
	v_add_f64 v[207:208], v[8:9], v[16:17]
	v_add_f64 v[209:210], v[10:11], v[18:19]
	v_add_f64 v[211:212], v[8:9], -v[16:17]
	v_add_f64 v[28:29], v[20:21], -v[28:29]
	;; [unrolled: 1-line block ×7, first 2 shown]
	v_add_f64 v[14:15], v[22:23], v[14:15]
	v_add_f64 v[12:13], v[20:21], v[12:13]
	;; [unrolled: 1-line block ×4, first 2 shown]
	v_mul_f64 v[26:27], v[200:201], s[26:27]
	v_mul_f64 v[200:201], v[30:31], s[8:9]
	;; [unrolled: 1-line block ×8, first 2 shown]
	v_add_f64 v[6:7], v[6:7], v[14:15]
	v_add_f64 v[4:5], v[4:5], v[12:13]
	v_fma_f64 v[30:31], v[30:31], s[8:9], v[26:27]
	v_fma_f64 v[200:201], v[205:206], s[14:15], -v[200:201]
	v_fma_f64 v[16:17], v[16:17], s[24:25], -v[207:208]
	v_fma_f64 v[28:29], v[28:29], s[8:9], v[24:25]
	v_fma_f64 v[198:199], v[203:204], s[14:15], -v[198:199]
	v_fma_f64 v[24:25], v[203:204], s[16:17], -v[24:25]
	;; [unrolled: 1-line block ×3, first 2 shown]
	v_fma_f64 v[203:204], v[8:9], s[10:11], v[207:208]
	v_fma_f64 v[205:206], v[10:11], s[10:11], v[209:210]
	v_fma_f64 v[18:19], v[18:19], s[24:25], -v[209:210]
	v_fma_f64 v[8:9], v[8:9], s[18:19], v[211:212]
	v_fma_f64 v[10:11], v[10:11], s[18:19], v[213:214]
	;; [unrolled: 1-line block ×10, first 2 shown]
	v_add_f64 v[200:201], v[200:201], v[14:15]
	v_add_f64 v[209:210], v[30:31], v[14:15]
	;; [unrolled: 1-line block ×7, first 2 shown]
	v_add_f64 v[18:19], v[200:201], -v[211:212]
	v_add_f64 v[200:201], v[54:55], v[58:59]
	v_add_f64 v[54:55], v[54:55], -v[58:59]
	v_add_f64 v[58:59], v[46:47], v[50:51]
	;; [unrolled: 2-line block ×3, first 2 shown]
	v_add_f64 v[198:199], v[52:53], v[56:57]
	v_add_f64 v[52:53], v[52:53], -v[56:57]
	v_add_f64 v[56:57], v[44:45], v[48:49]
	v_add_f64 v[44:45], v[44:45], -v[48:49]
	v_add_f64 v[46:47], v[46:47], -v[50:51]
	v_add_f64 v[48:49], v[36:37], v[40:41]
	v_add_f64 v[50:51], v[38:39], v[42:43]
	v_add_f64 v[36:37], v[40:41], -v[36:37]
	v_add_f64 v[38:39], v[42:43], -v[38:39]
	v_add_f64 v[28:29], v[207:208], v[205:206]
	v_add_f64 v[30:31], v[209:210], -v[203:204]
	v_add_f64 v[24:25], v[12:13], v[10:11]
	v_add_f64 v[26:27], v[14:15], -v[8:9]
	v_add_f64 v[12:13], v[12:13], -v[10:11]
	v_add_f64 v[14:15], v[8:9], v[14:15]
	v_add_f64 v[8:9], v[207:208], -v[205:206]
	v_add_f64 v[10:11], v[203:204], v[209:210]
	v_add_f64 v[42:43], v[58:59], v[200:201]
	v_add_f64 v[205:206], v[58:59], -v[200:201]
	v_add_f64 v[40:41], v[56:57], v[198:199]
	v_add_f64 v[203:204], v[56:57], -v[198:199]
	v_add_f64 v[198:199], v[198:199], -v[48:49]
	;; [unrolled: 1-line block ×4, first 2 shown]
	v_add_f64 v[207:208], v[36:37], v[44:45]
	v_add_f64 v[209:210], v[38:39], v[46:47]
	v_add_f64 v[211:212], v[36:37], -v[44:45]
	v_add_f64 v[56:57], v[48:49], -v[56:57]
	;; [unrolled: 1-line block ×7, first 2 shown]
	v_add_f64 v[42:43], v[50:51], v[42:43]
	v_add_f64 v[40:41], v[48:49], v[40:41]
	;; [unrolled: 1-line block ×4, first 2 shown]
	v_mul_f64 v[54:55], v[200:201], s[26:27]
	v_mul_f64 v[200:201], v[58:59], s[8:9]
	;; [unrolled: 1-line block ×8, first 2 shown]
	v_add_f64 v[34:35], v[34:35], v[42:43]
	v_add_f64 v[32:33], v[32:33], v[40:41]
	v_fma_f64 v[58:59], v[58:59], s[8:9], v[54:55]
	v_fma_f64 v[200:201], v[205:206], s[14:15], -v[200:201]
	v_fma_f64 v[44:45], v[44:45], s[24:25], -v[207:208]
	v_fma_f64 v[56:57], v[56:57], s[8:9], v[52:53]
	v_fma_f64 v[198:199], v[203:204], s[14:15], -v[198:199]
	v_fma_f64 v[52:53], v[203:204], s[16:17], -v[52:53]
	;; [unrolled: 1-line block ×3, first 2 shown]
	v_fma_f64 v[203:204], v[36:37], s[10:11], v[207:208]
	v_fma_f64 v[205:206], v[38:39], s[10:11], v[209:210]
	v_fma_f64 v[46:47], v[46:47], s[24:25], -v[209:210]
	v_fma_f64 v[36:37], v[36:37], s[18:19], v[211:212]
	v_fma_f64 v[38:39], v[38:39], s[18:19], v[213:214]
	v_fma_f64 v[42:43], v[42:43], s[20:21], v[34:35]
	v_fma_f64 v[40:41], v[40:41], s[20:21], v[32:33]
	v_fma_f64 v[211:212], v[48:49], s[2:3], v[44:45]
	v_fma_f64 v[203:204], v[48:49], s[2:3], v[203:204]
	v_fma_f64 v[205:206], v[50:51], s[2:3], v[205:206]
	v_fma_f64 v[44:45], v[50:51], s[2:3], v[46:47]
	v_fma_f64 v[36:37], v[48:49], s[2:3], v[36:37]
	v_fma_f64 v[38:39], v[50:51], s[2:3], v[38:39]
	v_add_f64 v[200:201], v[200:201], v[42:43]
	v_add_f64 v[209:210], v[58:59], v[42:43]
	;; [unrolled: 1-line block ×7, first 2 shown]
	v_add_f64 v[46:47], v[200:201], -v[211:212]
	v_add_f64 v[200:201], v[82:83], v[86:87]
	v_add_f64 v[82:83], v[82:83], -v[86:87]
	v_add_f64 v[86:87], v[74:75], v[78:79]
	v_add_f64 v[48:49], v[198:199], -v[44:45]
	v_add_f64 v[44:45], v[198:199], v[44:45]
	v_add_f64 v[198:199], v[80:81], v[84:85]
	v_add_f64 v[80:81], v[80:81], -v[84:85]
	v_add_f64 v[84:85], v[72:73], v[76:77]
	v_add_f64 v[72:73], v[72:73], -v[76:77]
	v_add_f64 v[74:75], v[74:75], -v[78:79]
	v_add_f64 v[76:77], v[64:65], v[68:69]
	v_add_f64 v[78:79], v[66:67], v[70:71]
	v_add_f64 v[64:65], v[68:69], -v[64:65]
	v_add_f64 v[66:67], v[70:71], -v[66:67]
	v_add_f64 v[56:57], v[207:208], v[205:206]
	v_add_f64 v[58:59], v[209:210], -v[203:204]
	v_add_f64 v[52:53], v[40:41], v[38:39]
	v_add_f64 v[54:55], v[42:43], -v[36:37]
	v_add_f64 v[40:41], v[40:41], -v[38:39]
	v_add_f64 v[42:43], v[36:37], v[42:43]
	v_add_f64 v[36:37], v[207:208], -v[205:206]
	v_add_f64 v[38:39], v[203:204], v[209:210]
	v_add_f64 v[70:71], v[86:87], v[200:201]
	v_add_f64 v[205:206], v[86:87], -v[200:201]
	v_add_f64 v[68:69], v[84:85], v[198:199]
	v_add_f64 v[203:204], v[84:85], -v[198:199]
	v_add_f64 v[198:199], v[198:199], -v[76:77]
	;; [unrolled: 1-line block ×4, first 2 shown]
	v_add_f64 v[207:208], v[64:65], v[72:73]
	v_add_f64 v[209:210], v[66:67], v[74:75]
	v_add_f64 v[211:212], v[64:65], -v[72:73]
	v_add_f64 v[84:85], v[76:77], -v[84:85]
	;; [unrolled: 1-line block ×7, first 2 shown]
	v_add_f64 v[70:71], v[78:79], v[70:71]
	v_add_f64 v[68:69], v[76:77], v[68:69]
	;; [unrolled: 1-line block ×4, first 2 shown]
	v_mul_f64 v[82:83], v[200:201], s[26:27]
	v_mul_f64 v[200:201], v[86:87], s[8:9]
	;; [unrolled: 1-line block ×8, first 2 shown]
	v_add_f64 v[62:63], v[62:63], v[70:71]
	v_add_f64 v[60:61], v[60:61], v[68:69]
	v_fma_f64 v[86:87], v[86:87], s[8:9], v[82:83]
	v_fma_f64 v[200:201], v[205:206], s[14:15], -v[200:201]
	v_fma_f64 v[72:73], v[72:73], s[24:25], -v[207:208]
	v_fma_f64 v[84:85], v[84:85], s[8:9], v[80:81]
	v_fma_f64 v[198:199], v[203:204], s[14:15], -v[198:199]
	v_fma_f64 v[80:81], v[203:204], s[16:17], -v[80:81]
	;; [unrolled: 1-line block ×3, first 2 shown]
	v_fma_f64 v[203:204], v[64:65], s[10:11], v[207:208]
	v_fma_f64 v[205:206], v[66:67], s[10:11], v[209:210]
	v_fma_f64 v[74:75], v[74:75], s[24:25], -v[209:210]
	v_fma_f64 v[64:65], v[64:65], s[18:19], v[211:212]
	v_fma_f64 v[66:67], v[66:67], s[18:19], v[213:214]
	;; [unrolled: 1-line block ×10, first 2 shown]
	v_add_f64 v[200:201], v[200:201], v[70:71]
	v_add_f64 v[209:210], v[86:87], v[70:71]
	;; [unrolled: 1-line block ×7, first 2 shown]
	v_add_f64 v[74:75], v[200:201], -v[211:212]
	v_add_f64 v[200:201], v[110:111], v[114:115]
	v_add_f64 v[110:111], v[110:111], -v[114:115]
	v_add_f64 v[114:115], v[102:103], v[106:107]
	;; [unrolled: 2-line block ×3, first 2 shown]
	v_add_f64 v[198:199], v[108:109], v[112:113]
	v_add_f64 v[108:109], v[108:109], -v[112:113]
	v_add_f64 v[112:113], v[100:101], v[104:105]
	v_add_f64 v[100:101], v[100:101], -v[104:105]
	v_add_f64 v[102:103], v[102:103], -v[106:107]
	v_add_f64 v[104:105], v[92:93], v[96:97]
	v_add_f64 v[106:107], v[94:95], v[98:99]
	v_add_f64 v[92:93], v[96:97], -v[92:93]
	v_add_f64 v[94:95], v[98:99], -v[94:95]
	v_add_f64 v[84:85], v[207:208], v[205:206]
	v_add_f64 v[86:87], v[209:210], -v[203:204]
	v_add_f64 v[80:81], v[68:69], v[66:67]
	v_add_f64 v[82:83], v[70:71], -v[64:65]
	v_add_f64 v[68:69], v[68:69], -v[66:67]
	v_add_f64 v[70:71], v[64:65], v[70:71]
	v_add_f64 v[64:65], v[207:208], -v[205:206]
	v_add_f64 v[66:67], v[203:204], v[209:210]
	v_add_f64 v[98:99], v[114:115], v[200:201]
	v_add_f64 v[205:206], v[114:115], -v[200:201]
	v_add_f64 v[96:97], v[112:113], v[198:199]
	v_add_f64 v[203:204], v[112:113], -v[198:199]
	v_add_f64 v[198:199], v[198:199], -v[104:105]
	;; [unrolled: 1-line block ×4, first 2 shown]
	v_add_f64 v[207:208], v[92:93], v[100:101]
	v_add_f64 v[209:210], v[94:95], v[102:103]
	v_add_f64 v[211:212], v[92:93], -v[100:101]
	v_add_f64 v[112:113], v[104:105], -v[112:113]
	;; [unrolled: 1-line block ×7, first 2 shown]
	v_add_f64 v[98:99], v[106:107], v[98:99]
	v_add_f64 v[96:97], v[104:105], v[96:97]
	v_add_f64 v[104:105], v[207:208], v[108:109]
	v_add_f64 v[106:107], v[209:210], v[110:111]
	v_mul_f64 v[110:111], v[200:201], s[26:27]
	v_mul_f64 v[200:201], v[114:115], s[8:9]
	v_mul_f64 v[207:208], v[211:212], s[22:23]
	v_mul_f64 v[108:109], v[198:199], s[26:27]
	v_mul_f64 v[198:199], v[112:113], s[8:9]
	v_mul_f64 v[209:210], v[213:214], s[22:23]
	v_mul_f64 v[211:212], v[100:101], s[4:5]
	v_mul_f64 v[213:214], v[102:103], s[4:5]
	v_add_f64 v[90:91], v[90:91], v[98:99]
	v_add_f64 v[88:89], v[88:89], v[96:97]
	v_fma_f64 v[114:115], v[114:115], s[8:9], v[110:111]
	v_fma_f64 v[200:201], v[205:206], s[14:15], -v[200:201]
	v_fma_f64 v[100:101], v[100:101], s[24:25], -v[207:208]
	v_fma_f64 v[112:113], v[112:113], s[8:9], v[108:109]
	v_fma_f64 v[198:199], v[203:204], s[14:15], -v[198:199]
	v_fma_f64 v[108:109], v[203:204], s[16:17], -v[108:109]
	;; [unrolled: 1-line block ×3, first 2 shown]
	v_fma_f64 v[203:204], v[92:93], s[10:11], v[207:208]
	v_fma_f64 v[205:206], v[94:95], s[10:11], v[209:210]
	v_fma_f64 v[102:103], v[102:103], s[24:25], -v[209:210]
	v_fma_f64 v[92:93], v[92:93], s[18:19], v[211:212]
	v_fma_f64 v[94:95], v[94:95], s[18:19], v[213:214]
	;; [unrolled: 1-line block ×10, first 2 shown]
	v_add_f64 v[200:201], v[200:201], v[98:99]
	v_add_f64 v[209:210], v[114:115], v[98:99]
	;; [unrolled: 1-line block ×7, first 2 shown]
	v_add_f64 v[102:103], v[200:201], -v[211:212]
	v_add_f64 v[200:201], v[162:163], v[166:167]
	v_add_f64 v[162:163], v[162:163], -v[166:167]
	v_add_f64 v[166:167], v[154:155], v[158:159]
	;; [unrolled: 2-line block ×3, first 2 shown]
	v_add_f64 v[198:199], v[160:161], v[164:165]
	v_add_f64 v[160:161], v[160:161], -v[164:165]
	v_add_f64 v[164:165], v[152:153], v[156:157]
	v_add_f64 v[152:153], v[152:153], -v[156:157]
	v_add_f64 v[154:155], v[154:155], -v[158:159]
	v_add_f64 v[156:157], v[144:145], v[148:149]
	v_add_f64 v[158:159], v[146:147], v[150:151]
	v_add_f64 v[144:145], v[148:149], -v[144:145]
	v_add_f64 v[146:147], v[150:151], -v[146:147]
	v_add_f64 v[112:113], v[207:208], v[205:206]
	v_add_f64 v[114:115], v[209:210], -v[203:204]
	v_add_f64 v[108:109], v[96:97], v[94:95]
	v_add_f64 v[110:111], v[98:99], -v[92:93]
	v_add_f64 v[96:97], v[96:97], -v[94:95]
	v_add_f64 v[98:99], v[92:93], v[98:99]
	v_add_f64 v[92:93], v[207:208], -v[205:206]
	v_add_f64 v[94:95], v[203:204], v[209:210]
	v_add_f64 v[150:151], v[166:167], v[200:201]
	v_add_f64 v[205:206], v[166:167], -v[200:201]
	v_add_f64 v[148:149], v[164:165], v[198:199]
	v_add_f64 v[203:204], v[164:165], -v[198:199]
	v_add_f64 v[198:199], v[198:199], -v[156:157]
	v_add_f64 v[200:201], v[200:201], -v[158:159]
	v_add_f64 v[166:167], v[158:159], -v[166:167]
	v_add_f64 v[207:208], v[144:145], v[152:153]
	v_add_f64 v[209:210], v[146:147], v[154:155]
	v_add_f64 v[211:212], v[144:145], -v[152:153]
	v_add_f64 v[164:165], v[156:157], -v[164:165]
	;; [unrolled: 1-line block ×7, first 2 shown]
	v_add_f64 v[150:151], v[158:159], v[150:151]
	v_add_f64 v[148:149], v[156:157], v[148:149]
	;; [unrolled: 1-line block ×4, first 2 shown]
	v_mul_f64 v[162:163], v[200:201], s[26:27]
	v_mul_f64 v[200:201], v[166:167], s[8:9]
	v_mul_f64 v[207:208], v[211:212], s[22:23]
	v_mul_f64 v[160:161], v[198:199], s[26:27]
	v_mul_f64 v[198:199], v[164:165], s[8:9]
	v_mul_f64 v[209:210], v[213:214], s[22:23]
	v_mul_f64 v[211:212], v[152:153], s[4:5]
	v_mul_f64 v[213:214], v[154:155], s[4:5]
	v_add_f64 v[142:143], v[142:143], v[150:151]
	v_add_f64 v[140:141], v[140:141], v[148:149]
	v_fma_f64 v[166:167], v[166:167], s[8:9], v[162:163]
	v_fma_f64 v[200:201], v[205:206], s[14:15], -v[200:201]
	v_fma_f64 v[152:153], v[152:153], s[24:25], -v[207:208]
	v_fma_f64 v[164:165], v[164:165], s[8:9], v[160:161]
	v_fma_f64 v[198:199], v[203:204], s[14:15], -v[198:199]
	v_fma_f64 v[160:161], v[203:204], s[16:17], -v[160:161]
	;; [unrolled: 1-line block ×3, first 2 shown]
	v_fma_f64 v[203:204], v[144:145], s[10:11], v[207:208]
	v_fma_f64 v[205:206], v[146:147], s[10:11], v[209:210]
	v_fma_f64 v[154:155], v[154:155], s[24:25], -v[209:210]
	v_fma_f64 v[144:145], v[144:145], s[18:19], v[211:212]
	v_fma_f64 v[146:147], v[146:147], s[18:19], v[213:214]
	v_fma_f64 v[150:151], v[150:151], s[20:21], v[142:143]
	v_fma_f64 v[148:149], v[148:149], s[20:21], v[140:141]
	v_fma_f64 v[211:212], v[156:157], s[2:3], v[152:153]
	v_fma_f64 v[203:204], v[156:157], s[2:3], v[203:204]
	v_fma_f64 v[205:206], v[158:159], s[2:3], v[205:206]
	v_fma_f64 v[152:153], v[158:159], s[2:3], v[154:155]
	v_fma_f64 v[144:145], v[156:157], s[2:3], v[144:145]
	v_fma_f64 v[146:147], v[158:159], s[2:3], v[146:147]
	v_add_f64 v[200:201], v[200:201], v[150:151]
	v_add_f64 v[209:210], v[166:167], v[150:151]
	;; [unrolled: 1-line block ×7, first 2 shown]
	v_add_f64 v[154:155], v[200:201], -v[211:212]
	v_add_f64 v[200:201], v[190:191], v[194:195]
	v_add_f64 v[190:191], v[190:191], -v[194:195]
	v_add_f64 v[194:195], v[182:183], v[186:187]
	;; [unrolled: 2-line block ×3, first 2 shown]
	v_add_f64 v[198:199], v[188:189], v[192:193]
	v_add_f64 v[188:189], v[188:189], -v[192:193]
	v_add_f64 v[192:193], v[180:181], v[184:185]
	v_add_f64 v[180:181], v[180:181], -v[184:185]
	v_add_f64 v[182:183], v[182:183], -v[186:187]
	v_add_f64 v[184:185], v[172:173], v[176:177]
	v_add_f64 v[186:187], v[174:175], v[178:179]
	v_add_f64 v[172:173], v[176:177], -v[172:173]
	v_add_f64 v[174:175], v[178:179], -v[174:175]
	v_add_f64 v[164:165], v[207:208], v[205:206]
	v_add_f64 v[166:167], v[209:210], -v[203:204]
	v_add_f64 v[160:161], v[148:149], v[146:147]
	v_add_f64 v[162:163], v[150:151], -v[144:145]
	v_add_f64 v[148:149], v[148:149], -v[146:147]
	v_add_f64 v[150:151], v[144:145], v[150:151]
	v_add_f64 v[144:145], v[207:208], -v[205:206]
	v_add_f64 v[146:147], v[203:204], v[209:210]
	v_add_f64 v[178:179], v[194:195], v[200:201]
	v_add_f64 v[205:206], v[194:195], -v[200:201]
	v_add_f64 v[176:177], v[192:193], v[198:199]
	v_add_f64 v[203:204], v[192:193], -v[198:199]
	v_add_f64 v[198:199], v[198:199], -v[184:185]
	v_add_f64 v[200:201], v[200:201], -v[186:187]
	v_add_f64 v[194:195], v[186:187], -v[194:195]
	v_add_f64 v[207:208], v[172:173], v[180:181]
	v_add_f64 v[209:210], v[174:175], v[182:183]
	v_add_f64 v[211:212], v[172:173], -v[180:181]
	v_add_f64 v[192:193], v[184:185], -v[192:193]
	;; [unrolled: 1-line block ×7, first 2 shown]
	v_add_f64 v[178:179], v[186:187], v[178:179]
	v_add_f64 v[176:177], v[184:185], v[176:177]
	;; [unrolled: 1-line block ×4, first 2 shown]
	v_mul_f64 v[190:191], v[200:201], s[26:27]
	v_mul_f64 v[200:201], v[194:195], s[8:9]
	;; [unrolled: 1-line block ×8, first 2 shown]
	v_add_f64 v[170:171], v[170:171], v[178:179]
	v_add_f64 v[168:169], v[168:169], v[176:177]
	v_fma_f64 v[194:195], v[194:195], s[8:9], v[190:191]
	v_fma_f64 v[200:201], v[205:206], s[14:15], -v[200:201]
	v_fma_f64 v[180:181], v[180:181], s[24:25], -v[207:208]
	v_fma_f64 v[192:193], v[192:193], s[8:9], v[188:189]
	v_fma_f64 v[198:199], v[203:204], s[14:15], -v[198:199]
	v_fma_f64 v[188:189], v[203:204], s[16:17], -v[188:189]
	;; [unrolled: 1-line block ×3, first 2 shown]
	v_fma_f64 v[203:204], v[172:173], s[10:11], v[207:208]
	v_fma_f64 v[205:206], v[174:175], s[10:11], v[209:210]
	v_fma_f64 v[182:183], v[182:183], s[24:25], -v[209:210]
	v_fma_f64 v[172:173], v[172:173], s[18:19], v[211:212]
	v_fma_f64 v[174:175], v[174:175], s[18:19], v[213:214]
	;; [unrolled: 1-line block ×10, first 2 shown]
	v_add_f64 v[200:201], v[200:201], v[178:179]
	v_add_f64 v[209:210], v[194:195], v[178:179]
	v_add_f64 v[178:179], v[190:191], v[178:179]
	v_add_f64 v[198:199], v[198:199], v[176:177]
	v_add_f64 v[207:208], v[192:193], v[176:177]
	v_add_f64 v[176:177], v[188:189], v[176:177]
	v_add_f64 v[186:187], v[211:212], v[200:201]
	v_add_f64 v[182:183], v[200:201], -v[211:212]
	v_add_f64 v[200:201], v[132:133], v[136:137]
	v_add_f64 v[132:133], v[132:133], -v[136:137]
	v_add_f64 v[136:137], v[124:125], v[128:129]
	;; [unrolled: 2-line block ×3, first 2 shown]
	v_add_f64 v[198:199], v[134:135], v[138:139]
	v_add_f64 v[134:135], v[134:135], -v[138:139]
	v_add_f64 v[138:139], v[126:127], v[130:131]
	v_add_f64 v[128:129], v[124:125], -v[128:129]
	v_add_f64 v[130:131], v[126:127], -v[130:131]
	v_add_f64 v[126:127], v[116:117], v[120:121]
	v_add_f64 v[124:125], v[118:119], v[122:123]
	v_add_f64 v[116:117], v[120:121], -v[116:117]
	v_add_f64 v[118:119], v[122:123], -v[118:119]
	v_add_f64 v[192:193], v[207:208], v[205:206]
	v_add_f64 v[194:195], v[209:210], -v[203:204]
	v_add_f64 v[188:189], v[176:177], v[172:173]
	v_add_f64 v[190:191], v[178:179], -v[213:214]
	v_add_f64 v[172:173], v[176:177], -v[172:173]
	v_add_f64 v[174:175], v[213:214], v[178:179]
	v_add_f64 v[176:177], v[207:208], -v[205:206]
	v_add_f64 v[178:179], v[203:204], v[209:210]
	v_add_f64 v[120:121], v[136:137], v[200:201]
	v_add_f64 v[203:204], v[136:137], -v[200:201]
	v_add_f64 v[122:123], v[138:139], v[198:199]
	v_add_f64 v[205:206], v[138:139], -v[198:199]
	v_add_f64 v[136:137], v[126:127], -v[136:137]
	;; [unrolled: 1-line block ×3, first 2 shown]
	v_add_f64 v[207:208], v[116:117], v[128:129]
	v_add_f64 v[209:210], v[118:119], v[130:131]
	v_add_f64 v[211:212], v[116:117], -v[128:129]
	v_add_f64 v[213:214], v[118:119], -v[130:131]
	;; [unrolled: 1-line block ×8, first 2 shown]
	v_add_f64 v[120:121], v[126:127], v[120:121]
	v_add_f64 v[122:123], v[124:125], v[122:123]
	v_add_f64 v[124:125], v[207:208], v[132:133]
	v_add_f64 v[126:127], v[209:210], v[134:135]
	v_mul_f64 v[134:135], v[198:199], s[26:27]
	v_mul_f64 v[198:199], v[136:137], s[8:9]
	;; [unrolled: 1-line block ×8, first 2 shown]
	v_add_f64 v[0:1], v[0:1], v[120:121]
	v_add_f64 v[2:3], v[2:3], v[122:123]
	v_fma_f64 v[138:139], v[138:139], s[8:9], v[134:135]
	v_fma_f64 v[198:199], v[203:204], s[14:15], -v[198:199]
	v_fma_f64 v[128:129], v[128:129], s[24:25], -v[207:208]
	;; [unrolled: 1-line block ×3, first 2 shown]
	v_fma_f64 v[136:137], v[136:137], s[8:9], v[132:133]
	v_fma_f64 v[200:201], v[205:206], s[14:15], -v[200:201]
	v_fma_f64 v[132:133], v[203:204], s[16:17], -v[132:133]
	;; [unrolled: 1-line block ×3, first 2 shown]
	v_fma_f64 v[203:204], v[116:117], s[10:11], v[207:208]
	v_fma_f64 v[205:206], v[118:119], s[10:11], v[209:210]
	v_fma_f64 v[116:117], v[116:117], s[18:19], v[211:212]
	v_fma_f64 v[118:119], v[118:119], s[18:19], v[213:214]
	v_fma_f64 v[120:121], v[120:121], s[20:21], v[0:1]
	v_fma_f64 v[122:123], v[122:123], s[20:21], v[2:3]
	v_fma_f64 v[207:208], v[124:125], s[2:3], v[128:129]
	v_fma_f64 v[128:129], v[126:127], s[2:3], v[130:131]
	v_fma_f64 v[203:204], v[124:125], s[2:3], v[203:204]
	v_fma_f64 v[205:206], v[126:127], s[2:3], v[205:206]
	v_fma_f64 v[209:210], v[124:125], s[2:3], v[116:117]
	v_fma_f64 v[211:212], v[126:127], s[2:3], v[118:119]
	v_add_f64 v[198:199], v[198:199], v[120:121]
	v_add_f64 v[136:137], v[136:137], v[120:121]
	;; [unrolled: 1-line block ×6, first 2 shown]
	v_add_f64 v[124:125], v[198:199], -v[128:129]
	v_add_f64 v[128:129], v[198:199], v[128:129]
	v_mul_lo_u16 v198, v202, 7
	v_add_f64 v[116:117], v[136:137], v[205:206]
	v_add_f64 v[120:121], v[132:133], v[211:212]
	v_add_f64 v[118:119], v[138:139], -v[203:204]
	v_add_f64 v[122:123], v[134:135], -v[209:210]
	v_and_b32_e32 v198, 0xffff, v198
	v_add_f64 v[126:127], v[207:208], v[200:201]
	v_add_f64 v[130:131], v[200:201], -v[207:208]
	v_add_f64 v[132:133], v[132:133], -v[211:212]
	v_add_f64 v[134:135], v[209:210], v[134:135]
	v_lshlrev_b32_e32 v198, 4, v198
	v_add_f64 v[136:137], v[136:137], -v[205:206]
	v_add_f64 v[138:139], v[203:204], v[138:139]
	scratch_store_b32 off, v198, off offset:2748 ; 4-byte Folded Spill
	ds_store_b128 v198, v[4:7]
	ds_store_b128 v198, v[28:31] offset:16
	ds_store_b128 v198, v[24:27] offset:32
	;; [unrolled: 1-line block ×6, first 2 shown]
	v_mul_u32_u24_e32 v4, 7, v215
	s_delay_alu instid0(VALU_DEP_1)
	v_dual_mov_b32 v11, v220 :: v_dual_lshlrev_b32 v4, 4, v4
	scratch_store_b32 off, v4, off offset:2740 ; 4-byte Folded Spill
	ds_store_b128 v4, v[32:35]
	ds_store_b128 v4, v[56:59] offset:16
	ds_store_b128 v4, v[52:55] offset:32
	;; [unrolled: 1-line block ×6, first 2 shown]
	v_mul_u32_u24_e32 v4, 7, v216
	v_dual_mov_b32 v41, v219 :: v_dual_mov_b32 v40, v218
	v_and_b32_e32 v42, 0xff, v215
	s_delay_alu instid0(VALU_DEP_3) | instskip(NEXT) | instid1(VALU_DEP_2)
	v_lshlrev_b32_e32 v4, 4, v4
	v_mul_lo_u16 v42, v42, 37
	scratch_store_b32 off, v4, off offset:2732 ; 4-byte Folded Spill
	ds_store_b128 v4, v[60:63]
	ds_store_b128 v4, v[84:87] offset:16
	ds_store_b128 v4, v[80:83] offset:32
	;; [unrolled: 1-line block ×6, first 2 shown]
	v_mul_u32_u24_e32 v4, 7, v11
	v_lshrrev_b16 v42, 8, v42
	s_delay_alu instid0(VALU_DEP_2) | instskip(NEXT) | instid1(VALU_DEP_2)
	v_lshlrev_b32_e32 v4, 4, v4
	v_sub_nc_u16 v43, v215, v42
	scratch_store_b32 off, v4, off offset:2628 ; 4-byte Folded Spill
	ds_store_b128 v4, v[88:91]
	ds_store_b128 v4, v[112:115] offset:16
	ds_store_b128 v4, v[108:111] offset:32
	;; [unrolled: 1-line block ×6, first 2 shown]
	v_mul_u32_u24_e32 v4, 7, v41
	v_lshrrev_b16 v43, 1, v43
	s_delay_alu instid0(VALU_DEP_2) | instskip(NEXT) | instid1(VALU_DEP_2)
	v_lshlrev_b32_e32 v4, 4, v4
	v_and_b32_e32 v43, 0x7f, v43
	scratch_store_b32 off, v4, off offset:2312 ; 4-byte Folded Spill
	ds_store_b128 v4, v[140:143]
	ds_store_b128 v4, v[164:167] offset:16
	ds_store_b128 v4, v[160:163] offset:32
	;; [unrolled: 1-line block ×6, first 2 shown]
	v_mul_u32_u24_e32 v4, 7, v40
	v_add_nc_u16 v42, v43, v42
	s_delay_alu instid0(VALU_DEP_2)
	v_lshlrev_b32_e32 v4, 4, v4
	scratch_store_b32 off, v4, off offset:1804 ; 4-byte Folded Spill
	ds_store_b128 v4, v[168:171]
	ds_store_b128 v4, v[192:195] offset:16
	ds_store_b128 v4, v[188:191] offset:32
	ds_store_b128 v4, v[184:187] offset:48
	ds_store_b128 v4, v[180:183] offset:64
	ds_store_b128 v4, v[172:175] offset:80
	ds_store_b128 v4, v[176:179] offset:96
	v_mul_u32_u24_e32 v4, 7, v217
	s_delay_alu instid0(VALU_DEP_1)
	v_lshlrev_b32_e32 v4, 4, v4
	scratch_store_b32 off, v4, off offset:1164 ; 4-byte Folded Spill
	ds_store_b128 v4, v[0:3]
	ds_store_b128 v4, v[116:119] offset:16
	ds_store_b128 v4, v[120:123] offset:32
	;; [unrolled: 1-line block ×6, first 2 shown]
	s_waitcnt lgkmcnt(0)
	s_waitcnt_vscnt null, 0x0
	s_barrier
	buffer_gl0_inv
	ds_load_b128 v[12:15], v196
	ds_load_b128 v[192:195], v196 offset:5488
	ds_load_b128 v[188:191], v196 offset:10976
	;; [unrolled: 1-line block ×21, first 2 shown]
	s_waitcnt lgkmcnt(0)
	scratch_store_b128 off, v[0:3], off offset:1216 ; 16-byte Folded Spill
	ds_load_b128 v[120:123], v196 offset:7840
	ds_load_b128 v[116:119], v196 offset:13328
	ds_load_b128 v[112:115], v196 offset:18816
	ds_load_b128 v[108:111], v196 offset:24304
	ds_load_b128 v[104:107], v196 offset:29792
	ds_load_b128 v[100:103], v196 offset:35280
	ds_load_b128 v[0:3], v196 offset:3136
	s_waitcnt lgkmcnt(0)
	scratch_store_b128 off, v[0:3], off offset:1200 ; 16-byte Folded Spill
	ds_load_b128 v[96:99], v196 offset:8624
	ds_load_b128 v[92:95], v196 offset:14112
	ds_load_b128 v[88:91], v196 offset:19600
	ds_load_b128 v[84:87], v196 offset:25088
	ds_load_b128 v[80:83], v196 offset:30576
	ds_load_b128 v[76:79], v196 offset:36064
	ds_load_b128 v[0:3], v196 offset:3920
	;; [unrolled: 9-line block ×3, first 2 shown]
	s_waitcnt lgkmcnt(0)
	scratch_store_b128 off, v[0:3], off offset:908 ; 16-byte Folded Spill
	v_and_b32_e32 v0, 0xff, v202
	ds_load_b128 v[44:47], v196 offset:10192
	ds_load_b128 v[32:35], v196 offset:15680
	;; [unrolled: 1-line block ×6, first 2 shown]
	v_mul_lo_u16 v0, v0, 37
	s_delay_alu instid0(VALU_DEP_1) | instskip(NEXT) | instid1(VALU_DEP_1)
	v_lshrrev_b16 v0, 8, v0
	v_sub_nc_u16 v1, v202, v0
	s_delay_alu instid0(VALU_DEP_1) | instskip(NEXT) | instid1(VALU_DEP_1)
	v_lshrrev_b16 v1, 1, v1
	v_and_b32_e32 v1, 0x7f, v1
	s_delay_alu instid0(VALU_DEP_1) | instskip(NEXT) | instid1(VALU_DEP_1)
	v_add_nc_u16 v0, v1, v0
	v_lshrrev_b16 v0, 2, v0
	scratch_store_b32 off, v0, off offset:924 ; 4-byte Folded Spill
	v_mul_lo_u16 v0, v0, 7
	s_delay_alu instid0(VALU_DEP_1) | instskip(NEXT) | instid1(VALU_DEP_1)
	v_sub_nc_u16 v0, v202, v0
	v_and_b32_e32 v0, 0xff, v0
	scratch_store_b32 off, v0, off offset:940 ; 4-byte Folded Spill
	v_mul_u32_u24_e32 v0, 6, v0
	s_delay_alu instid0(VALU_DEP_1)
	v_lshlrev_b32_e32 v2, 4, v0
	s_clause 0x1
	global_load_b128 v[3:6], v2, s[6:7] offset:48
	global_load_b128 v[7:10], v2, s[6:7] offset:32
	s_waitcnt vmcnt(0)
	scratch_store_b128 off, v[7:10], off offset:1480 ; 16-byte Folded Spill
	s_clause 0x1
	global_load_b128 v[198:201], v2, s[6:7] offset:16
	global_load_b128 v[202:205], v2, s[6:7]
	s_clause 0x1
	scratch_store_b128 off, v[3:6], off offset:1496
	scratch_store_b32 off, v215, off offset:1020
	s_waitcnt vmcnt(1)
	scratch_store_b128 off, v[198:201], off offset:1464 ; 16-byte Folded Spill
	s_waitcnt vmcnt(0)
	v_mul_f64 v[0:1], v[194:195], v[204:205]
	scratch_store_b128 off, v[202:205], off offset:1448 ; 16-byte Folded Spill
	v_fma_f64 v[246:247], v[192:193], v[202:203], -v[0:1]
	v_mul_f64 v[0:1], v[192:193], v[204:205]
	s_delay_alu instid0(VALU_DEP_1) | instskip(SKIP_1) | instid1(VALU_DEP_1)
	v_fma_f64 v[38:39], v[194:195], v[202:203], v[0:1]
	v_mul_f64 v[0:1], v[190:191], v[200:201]
	v_fma_f64 v[248:249], v[188:189], v[198:199], -v[0:1]
	v_mul_f64 v[0:1], v[188:189], v[200:201]
	s_delay_alu instid0(VALU_DEP_1) | instskip(SKIP_1) | instid1(VALU_DEP_1)
	v_fma_f64 v[254:255], v[190:191], v[198:199], v[0:1]
	v_mul_f64 v[0:1], v[186:187], v[9:10]
	v_fma_f64 v[250:251], v[184:185], v[7:8], -v[0:1]
	v_mul_f64 v[0:1], v[184:185], v[9:10]
	v_lshrrev_b16 v10, 2, v42
	s_delay_alu instid0(VALU_DEP_1) | instskip(SKIP_2) | instid1(VALU_DEP_1)
	v_mul_lo_u16 v42, v10, 7
	scratch_store_b32 off, v10, off offset:956 ; 4-byte Folded Spill
	v_sub_nc_u16 v42, v215, v42
	v_and_b32_e32 v10, 0xff, v42
	s_delay_alu instid0(VALU_DEP_1)
	v_mul_u32_u24_e32 v42, 6, v10
	scratch_store_b32 off, v10, off offset:972 ; 4-byte Folded Spill
	v_and_b32_e32 v10, 0xff, v216
	v_fma_f64 v[252:253], v[186:187], v[7:8], v[0:1]
	v_mul_f64 v[0:1], v[182:183], v[5:6]
	global_load_b128 v[184:187], v2, s[6:7] offset:64
	v_fma_f64 v[8:9], v[180:181], v[3:4], -v[0:1]
	v_mul_f64 v[0:1], v[180:181], v[5:6]
	s_delay_alu instid0(VALU_DEP_1)
	v_fma_f64 v[36:37], v[182:183], v[3:4], v[0:1]
	global_load_b128 v[180:183], v2, s[6:7] offset:80
	s_waitcnt vmcnt(1)
	v_mul_f64 v[0:1], v[178:179], v[186:187]
	scratch_store_b128 off, v[184:187], off offset:1580 ; 16-byte Folded Spill
	v_fma_f64 v[6:7], v[176:177], v[184:185], -v[0:1]
	v_mul_f64 v[0:1], v[176:177], v[186:187]
	s_delay_alu instid0(VALU_DEP_1)
	v_fma_f64 v[4:5], v[178:179], v[184:185], v[0:1]
	s_waitcnt vmcnt(0)
	v_mul_f64 v[0:1], v[174:175], v[182:183]
	scratch_store_b128 off, v[180:183], off offset:1596 ; 16-byte Folded Spill
	v_fma_f64 v[2:3], v[172:173], v[180:181], -v[0:1]
	v_mul_f64 v[0:1], v[172:173], v[182:183]
	v_lshlrev_b32_e32 v172, 4, v42
	s_delay_alu instid0(VALU_DEP_2)
	v_fma_f64 v[0:1], v[174:175], v[180:181], v[0:1]
	s_clause 0x1
	global_load_b128 v[173:176], v172, s[6:7] offset:48
	global_load_b128 v[177:180], v172, s[6:7] offset:32
	s_waitcnt vmcnt(0)
	scratch_store_b128 off, v[177:180], off offset:1772 ; 16-byte Folded Spill
	s_clause 0x1
	global_load_b128 v[181:184], v172, s[6:7] offset:16
	global_load_b128 v[185:188], v172, s[6:7]
	s_clause 0x2
	scratch_store_b32 off, v10, off offset:796
	scratch_store_b128 off, v[173:176], off offset:1788
	scratch_store_b32 off, v216, off offset:876
	s_waitcnt vmcnt(1)
	scratch_store_b128 off, v[181:184], off offset:1756 ; 16-byte Folded Spill
	s_waitcnt vmcnt(0)
	v_mul_f64 v[42:43], v[170:171], v[187:188]
	scratch_store_b128 off, v[185:188], off offset:1740 ; 16-byte Folded Spill
	v_fma_f64 v[228:229], v[168:169], v[185:186], -v[42:43]
	v_mul_f64 v[42:43], v[168:169], v[187:188]
	s_delay_alu instid0(VALU_DEP_1) | instskip(SKIP_1) | instid1(VALU_DEP_1)
	v_fma_f64 v[232:233], v[170:171], v[185:186], v[42:43]
	v_mul_f64 v[42:43], v[166:167], v[183:184]
	v_fma_f64 v[226:227], v[164:165], v[181:182], -v[42:43]
	v_mul_f64 v[42:43], v[164:165], v[183:184]
	s_delay_alu instid0(VALU_DEP_1) | instskip(SKIP_1) | instid1(VALU_DEP_1)
	v_fma_f64 v[230:231], v[166:167], v[181:182], v[42:43]
	v_mul_f64 v[42:43], v[162:163], v[179:180]
	v_fma_f64 v[222:223], v[160:161], v[177:178], -v[42:43]
	v_mul_f64 v[42:43], v[160:161], v[179:180]
	s_delay_alu instid0(VALU_DEP_1) | instskip(SKIP_4) | instid1(VALU_DEP_1)
	v_fma_f64 v[224:225], v[162:163], v[177:178], v[42:43]
	v_mul_f64 v[42:43], v[158:159], v[175:176]
	global_load_b128 v[160:163], v172, s[6:7] offset:64
	v_fma_f64 v[234:235], v[156:157], v[173:174], -v[42:43]
	v_mul_f64 v[42:43], v[156:157], v[175:176]
	v_fma_f64 v[236:237], v[158:159], v[173:174], v[42:43]
	global_load_b128 v[156:159], v172, s[6:7] offset:80
	s_waitcnt vmcnt(1)
	v_mul_f64 v[42:43], v[154:155], v[162:163]
	scratch_store_b128 off, v[160:163], off offset:1844 ; 16-byte Folded Spill
	v_fma_f64 v[238:239], v[152:153], v[160:161], -v[42:43]
	v_mul_f64 v[42:43], v[152:153], v[162:163]
	s_delay_alu instid0(VALU_DEP_1)
	v_fma_f64 v[240:241], v[154:155], v[160:161], v[42:43]
	s_waitcnt vmcnt(0)
	v_mul_f64 v[42:43], v[150:151], v[158:159]
	scratch_store_b128 off, v[156:159], off offset:1892 ; 16-byte Folded Spill
	v_fma_f64 v[242:243], v[148:149], v[156:157], -v[42:43]
	v_mul_f64 v[42:43], v[148:149], v[158:159]
	s_delay_alu instid0(VALU_DEP_1) | instskip(SKIP_1) | instid1(VALU_DEP_1)
	v_fma_f64 v[244:245], v[150:151], v[156:157], v[42:43]
	v_mul_lo_u16 v42, v10, 37
	v_lshrrev_b16 v42, 8, v42
	s_delay_alu instid0(VALU_DEP_1) | instskip(NEXT) | instid1(VALU_DEP_1)
	v_sub_nc_u16 v43, v216, v42
	v_lshrrev_b16 v43, 1, v43
	s_delay_alu instid0(VALU_DEP_1) | instskip(NEXT) | instid1(VALU_DEP_1)
	v_and_b32_e32 v43, 0x7f, v43
	v_add_nc_u16 v42, v43, v42
	s_delay_alu instid0(VALU_DEP_1) | instskip(NEXT) | instid1(VALU_DEP_1)
	v_lshrrev_b16 v10, 2, v42
	v_mul_lo_u16 v42, v10, 7
	scratch_store_b32 off, v10, off offset:1004 ; 4-byte Folded Spill
	v_sub_nc_u16 v42, v216, v42
	s_delay_alu instid0(VALU_DEP_1) | instskip(NEXT) | instid1(VALU_DEP_1)
	v_and_b32_e32 v10, 0xff, v42
	v_mul_u32_u24_e32 v42, 6, v10
	scratch_store_b32 off, v10, off offset:1084 ; 4-byte Folded Spill
	v_and_b32_e32 v10, 0xff, v11
	v_lshlrev_b32_e32 v148, 4, v42
	s_clause 0x1
	global_load_b128 v[149:152], v148, s[6:7] offset:48
	global_load_b128 v[153:156], v148, s[6:7] offset:32
	s_waitcnt vmcnt(0)
	scratch_store_b128 off, v[153:156], off offset:2068 ; 16-byte Folded Spill
	s_clause 0x1
	global_load_b128 v[157:160], v148, s[6:7] offset:16
	global_load_b128 v[161:164], v148, s[6:7]
	s_clause 0x2
	scratch_store_b32 off, v10, off offset:812
	scratch_store_b128 off, v[149:152], off offset:2084
	scratch_store_b32 off, v11, off offset:892
	s_waitcnt vmcnt(1)
	scratch_store_b128 off, v[157:160], off offset:2052 ; 16-byte Folded Spill
	s_waitcnt vmcnt(0)
	v_mul_f64 v[42:43], v[146:147], v[163:164]
	scratch_store_b128 off, v[161:164], off offset:2036 ; 16-byte Folded Spill
	v_fma_f64 v[165:166], v[144:145], v[161:162], -v[42:43]
	v_mul_f64 v[42:43], v[144:145], v[163:164]
	s_delay_alu instid0(VALU_DEP_1) | instskip(SKIP_1) | instid1(VALU_DEP_1)
	v_fma_f64 v[161:162], v[146:147], v[161:162], v[42:43]
	v_mul_f64 v[42:43], v[142:143], v[159:160]
	v_fma_f64 v[200:201], v[140:141], v[157:158], -v[42:43]
	v_mul_f64 v[42:43], v[140:141], v[159:160]
	s_delay_alu instid0(VALU_DEP_1) | instskip(SKIP_1) | instid1(VALU_DEP_1)
	v_fma_f64 v[204:205], v[142:143], v[157:158], v[42:43]
	v_mul_f64 v[42:43], v[138:139], v[155:156]
	v_fma_f64 v[198:199], v[136:137], v[153:154], -v[42:43]
	v_mul_f64 v[42:43], v[136:137], v[155:156]
	s_delay_alu instid0(VALU_DEP_1) | instskip(SKIP_4) | instid1(VALU_DEP_1)
	v_fma_f64 v[202:203], v[138:139], v[153:154], v[42:43]
	v_mul_f64 v[42:43], v[134:135], v[151:152]
	global_load_b128 v[136:139], v148, s[6:7] offset:64
	v_fma_f64 v[210:211], v[132:133], v[149:150], -v[42:43]
	v_mul_f64 v[42:43], v[132:133], v[151:152]
	v_fma_f64 v[212:213], v[134:135], v[149:150], v[42:43]
	global_load_b128 v[132:135], v148, s[6:7] offset:80
	s_waitcnt vmcnt(1)
	v_mul_f64 v[42:43], v[130:131], v[138:139]
	scratch_store_b128 off, v[136:139], off offset:2116 ; 16-byte Folded Spill
	v_fma_f64 v[214:215], v[128:129], v[136:137], -v[42:43]
	v_mul_f64 v[42:43], v[128:129], v[138:139]
	s_delay_alu instid0(VALU_DEP_1)
	v_fma_f64 v[181:182], v[130:131], v[136:137], v[42:43]
	s_waitcnt vmcnt(0)
	v_mul_f64 v[42:43], v[126:127], v[134:135]
	scratch_store_b128 off, v[132:135], off offset:2132 ; 16-byte Folded Spill
	v_fma_f64 v[218:219], v[124:125], v[132:133], -v[42:43]
	v_mul_f64 v[42:43], v[124:125], v[134:135]
	s_delay_alu instid0(VALU_DEP_1) | instskip(SKIP_1) | instid1(VALU_DEP_1)
	v_fma_f64 v[220:221], v[126:127], v[132:133], v[42:43]
	v_mul_lo_u16 v42, v10, 37
	v_lshrrev_b16 v42, 8, v42
	s_delay_alu instid0(VALU_DEP_1) | instskip(NEXT) | instid1(VALU_DEP_1)
	v_sub_nc_u16 v43, v11, v42
	v_lshrrev_b16 v43, 1, v43
	s_delay_alu instid0(VALU_DEP_1) | instskip(NEXT) | instid1(VALU_DEP_1)
	v_and_b32_e32 v43, 0x7f, v43
	v_add_nc_u16 v42, v43, v42
	s_delay_alu instid0(VALU_DEP_1) | instskip(NEXT) | instid1(VALU_DEP_1)
	v_lshrrev_b16 v10, 2, v42
	v_mul_lo_u16 v42, v10, 7
	scratch_store_b32 off, v10, off offset:1100 ; 4-byte Folded Spill
	v_sub_nc_u16 v42, v11, v42
	s_delay_alu instid0(VALU_DEP_1) | instskip(NEXT) | instid1(VALU_DEP_1)
	v_dual_mov_b32 v11, v41 :: v_dual_and_b32 v10, 0xff, v42
	v_mul_u32_u24_e32 v42, 6, v10
	scratch_store_b32 off, v10, off offset:1116 ; 4-byte Folded Spill
	v_and_b32_e32 v10, 0xff, v11
	v_lshlrev_b32_e32 v126, 4, v42
	s_clause 0x1
	global_load_b128 v[127:130], v126, s[6:7] offset:48
	global_load_b128 v[131:134], v126, s[6:7] offset:32
	s_waitcnt vmcnt(0)
	scratch_store_b128 off, v[131:134], off offset:2264 ; 16-byte Folded Spill
	s_clause 0x1
	global_load_b128 v[135:138], v126, s[6:7] offset:16
	global_load_b128 v[139:142], v126, s[6:7]
	s_clause 0x2
	scratch_store_b128 off, v[127:130], off offset:2280
	scratch_store_b32 off, v10, off offset:828
	scratch_store_b32 off, v11, off offset:1052
	s_waitcnt vmcnt(1)
	scratch_store_b128 off, v[135:138], off offset:2248 ; 16-byte Folded Spill
	s_waitcnt vmcnt(0)
	v_mul_f64 v[42:43], v[122:123], v[141:142]
	scratch_store_b128 off, v[139:142], off offset:2232 ; 16-byte Folded Spill
	v_fma_f64 v[124:125], v[120:121], v[139:140], -v[42:43]
	v_mul_f64 v[42:43], v[120:121], v[141:142]
	s_delay_alu instid0(VALU_DEP_1) | instskip(SKIP_1) | instid1(VALU_DEP_1)
	v_fma_f64 v[122:123], v[122:123], v[139:140], v[42:43]
	v_mul_f64 v[42:43], v[118:119], v[137:138]
	v_fma_f64 v[120:121], v[116:117], v[135:136], -v[42:43]
	v_mul_f64 v[42:43], v[116:117], v[137:138]
	s_delay_alu instid0(VALU_DEP_1) | instskip(SKIP_1) | instid1(VALU_DEP_1)
	v_fma_f64 v[118:119], v[118:119], v[135:136], v[42:43]
	v_mul_f64 v[42:43], v[114:115], v[133:134]
	v_fma_f64 v[116:117], v[112:113], v[131:132], -v[42:43]
	v_mul_f64 v[42:43], v[112:113], v[133:134]
	s_delay_alu instid0(VALU_DEP_1) | instskip(SKIP_4) | instid1(VALU_DEP_1)
	v_fma_f64 v[112:113], v[114:115], v[131:132], v[42:43]
	v_mul_f64 v[42:43], v[110:111], v[129:130]
	global_load_b128 v[131:134], v126, s[6:7] offset:64
	v_fma_f64 v[114:115], v[108:109], v[127:128], -v[42:43]
	v_mul_f64 v[42:43], v[108:109], v[129:130]
	v_fma_f64 v[108:109], v[110:111], v[127:128], v[42:43]
	global_load_b128 v[127:130], v126, s[6:7] offset:80
	s_waitcnt vmcnt(1)
	v_mul_f64 v[42:43], v[106:107], v[133:134]
	scratch_store_b128 off, v[131:134], off offset:2296 ; 16-byte Folded Spill
	v_fma_f64 v[110:111], v[104:105], v[131:132], -v[42:43]
	v_mul_f64 v[42:43], v[104:105], v[133:134]
	s_delay_alu instid0(VALU_DEP_1)
	v_fma_f64 v[104:105], v[106:107], v[131:132], v[42:43]
	s_waitcnt vmcnt(0)
	v_mul_f64 v[42:43], v[102:103], v[129:130]
	scratch_store_b128 off, v[127:130], off offset:2316 ; 16-byte Folded Spill
	v_fma_f64 v[106:107], v[100:101], v[127:128], -v[42:43]
	v_mul_f64 v[42:43], v[100:101], v[129:130]
	s_delay_alu instid0(VALU_DEP_1) | instskip(SKIP_1) | instid1(VALU_DEP_1)
	v_fma_f64 v[100:101], v[102:103], v[127:128], v[42:43]
	v_mul_lo_u16 v42, v10, 37
	v_lshrrev_b16 v42, 8, v42
	s_delay_alu instid0(VALU_DEP_1) | instskip(NEXT) | instid1(VALU_DEP_1)
	v_sub_nc_u16 v43, v11, v42
	v_lshrrev_b16 v43, 1, v43
	s_delay_alu instid0(VALU_DEP_1) | instskip(NEXT) | instid1(VALU_DEP_1)
	v_and_b32_e32 v43, 0x7f, v43
	v_add_nc_u16 v42, v43, v42
	s_delay_alu instid0(VALU_DEP_1) | instskip(NEXT) | instid1(VALU_DEP_1)
	v_lshrrev_b16 v10, 2, v42
	v_mul_lo_u16 v42, v10, 7
	scratch_store_b32 off, v10, off offset:1132 ; 4-byte Folded Spill
	v_sub_nc_u16 v42, v11, v42
	s_delay_alu instid0(VALU_DEP_1) | instskip(NEXT) | instid1(VALU_DEP_1)
	v_dual_mov_b32 v11, v40 :: v_dual_and_b32 v10, 0xff, v42
	v_mul_u32_u24_e32 v42, 6, v10
	scratch_store_b32 off, v10, off offset:1148 ; 4-byte Folded Spill
	v_and_b32_e32 v10, 0xffff, v11
	v_lshlrev_b32_e32 v102, 4, v42
	s_clause 0x1
	global_load_b128 v[136:139], v102, s[6:7] offset:48
	global_load_b128 v[140:143], v102, s[6:7] offset:32
	s_waitcnt vmcnt(0)
	scratch_store_b128 off, v[140:143], off offset:2460 ; 16-byte Folded Spill
	s_clause 0x1
	global_load_b128 v[126:129], v102, s[6:7] offset:16
	global_load_b128 v[144:147], v102, s[6:7]
	s_clause 0x1
	scratch_store_b32 off, v10, off offset:860
	scratch_store_b32 off, v11, off offset:1068
	s_waitcnt vmcnt(0)
	v_mul_f64 v[42:43], v[98:99], v[146:147]
	scratch_store_b128 off, v[144:147], off offset:2428 ; 16-byte Folded Spill
	v_fma_f64 v[132:133], v[96:97], v[144:145], -v[42:43]
	v_mul_f64 v[42:43], v[96:97], v[146:147]
	s_delay_alu instid0(VALU_DEP_1) | instskip(SKIP_3) | instid1(VALU_DEP_2)
	v_fma_f64 v[134:135], v[98:99], v[144:145], v[42:43]
	v_mov_b32_e32 v96, v126
	v_dual_mov_b32 v98, v128 :: v_dual_mov_b32 v99, v129
	v_mov_b32_e32 v97, v127
	v_mul_f64 v[42:43], v[94:95], v[98:99]
	scratch_store_b128 off, v[96:99], off offset:2444 ; 16-byte Folded Spill
	v_fma_f64 v[126:127], v[92:93], v[96:97], -v[42:43]
	v_mul_f64 v[42:43], v[92:93], v[98:99]
	s_delay_alu instid0(VALU_DEP_1) | instskip(SKIP_1) | instid1(VALU_DEP_1)
	v_fma_f64 v[130:131], v[94:95], v[96:97], v[42:43]
	v_mul_f64 v[42:43], v[90:91], v[142:143]
	v_fma_f64 v[148:149], v[88:89], v[140:141], -v[42:43]
	v_mul_f64 v[42:43], v[88:89], v[142:143]
	s_delay_alu instid0(VALU_DEP_1) | instskip(SKIP_3) | instid1(VALU_DEP_2)
	v_fma_f64 v[128:129], v[90:91], v[140:141], v[42:43]
	v_mov_b32_e32 v88, v136
	v_dual_mov_b32 v90, v138 :: v_dual_mov_b32 v91, v139
	v_mov_b32_e32 v89, v137
	v_mul_f64 v[42:43], v[86:87], v[90:91]
	scratch_store_b128 off, v[88:91], off offset:2476 ; 16-byte Folded Spill
	v_fma_f64 v[136:137], v[84:85], v[88:89], -v[42:43]
	v_mul_f64 v[42:43], v[84:85], v[90:91]
	s_delay_alu instid0(VALU_DEP_1)
	v_fma_f64 v[138:139], v[86:87], v[88:89], v[42:43]
	s_clause 0x1
	global_load_b128 v[84:87], v102, s[6:7] offset:80
	global_load_b128 v[88:91], v102, s[6:7] offset:64
	s_waitcnt vmcnt(1)
	scratch_store_b128 off, v[84:87], off offset:2512 ; 16-byte Folded Spill
	s_waitcnt vmcnt(0)
	v_mul_f64 v[42:43], v[82:83], v[90:91]
	scratch_store_b128 off, v[88:91], off offset:2496 ; 16-byte Folded Spill
	v_fma_f64 v[140:141], v[80:81], v[88:89], -v[42:43]
	v_mul_f64 v[42:43], v[80:81], v[90:91]
	s_delay_alu instid0(VALU_DEP_1) | instskip(SKIP_1) | instid1(VALU_DEP_1)
	v_fma_f64 v[142:143], v[82:83], v[88:89], v[42:43]
	v_mul_f64 v[42:43], v[78:79], v[86:87]
	v_fma_f64 v[144:145], v[76:77], v[84:85], -v[42:43]
	v_mul_f64 v[42:43], v[76:77], v[86:87]
	s_delay_alu instid0(VALU_DEP_1) | instskip(SKIP_1) | instid1(VALU_DEP_1)
	v_fma_f64 v[146:147], v[78:79], v[84:85], v[42:43]
	v_mul_u32_u24_e32 v42, 0x2493, v10
	v_lshrrev_b32_e32 v42, 16, v42
	s_delay_alu instid0(VALU_DEP_1) | instskip(NEXT) | instid1(VALU_DEP_1)
	v_sub_nc_u16 v43, v11, v42
	v_lshrrev_b16 v43, 1, v43
	s_delay_alu instid0(VALU_DEP_1) | instskip(NEXT) | instid1(VALU_DEP_1)
	v_add_nc_u16 v42, v43, v42
	v_lshrrev_b16 v10, 2, v42
	s_delay_alu instid0(VALU_DEP_1) | instskip(SKIP_3) | instid1(VALU_DEP_1)
	v_mul_lo_u16 v42, v10, 7
	scratch_store_b32 off, v10, off offset:1168 ; 4-byte Folded Spill
	v_and_b32_e32 v10, 0xffff, v217
	v_sub_nc_u16 v172, v11, v42
	v_mul_lo_u16 v42, v172, 6
	s_delay_alu instid0(VALU_DEP_1) | instskip(NEXT) | instid1(VALU_DEP_1)
	v_and_b32_e32 v42, 0xffff, v42
	v_lshlrev_b32_e32 v76, 4, v42
	s_clause 0x1
	global_load_b128 v[77:80], v76, s[6:7] offset:48
	global_load_b128 v[81:84], v76, s[6:7] offset:32
	s_waitcnt vmcnt(0)
	scratch_store_b128 off, v[81:84], off offset:2560 ; 16-byte Folded Spill
	s_clause 0x1
	global_load_b128 v[85:88], v76, s[6:7] offset:16
	global_load_b128 v[89:92], v76, s[6:7]
	s_clause 0x1
	scratch_store_b32 off, v10, off offset:844
	scratch_store_b32 off, v217, off offset:1036
	s_waitcnt vmcnt(1)
	scratch_store_b128 off, v[85:88], off offset:2544 ; 16-byte Folded Spill
	s_waitcnt vmcnt(0)
	v_mul_f64 v[42:43], v[74:75], v[91:92]
	scratch_store_b128 off, v[89:92], off offset:2528 ; 16-byte Folded Spill
	v_fma_f64 v[152:153], v[72:73], v[89:90], -v[42:43]
	v_mul_f64 v[42:43], v[72:73], v[91:92]
	s_delay_alu instid0(VALU_DEP_1) | instskip(SKIP_1) | instid1(VALU_DEP_1)
	v_fma_f64 v[158:159], v[74:75], v[89:90], v[42:43]
	v_mul_f64 v[42:43], v[70:71], v[87:88]
	v_fma_f64 v[177:178], v[68:69], v[85:86], -v[42:43]
	v_mul_f64 v[42:43], v[68:69], v[87:88]
	s_delay_alu instid0(VALU_DEP_1) | instskip(SKIP_1) | instid1(VALU_DEP_1)
	v_fma_f64 v[156:157], v[70:71], v[85:86], v[42:43]
	v_mul_f64 v[42:43], v[66:67], v[83:84]
	v_fma_f64 v[175:176], v[64:65], v[81:82], -v[42:43]
	v_mul_f64 v[42:43], v[64:65], v[83:84]
	s_delay_alu instid0(VALU_DEP_1)
	v_fma_f64 v[173:174], v[66:67], v[81:82], v[42:43]
	v_mul_f64 v[42:43], v[58:59], v[79:80]
	global_load_b128 v[64:67], v76, s[6:7] offset:64
	scratch_store_b128 off, v[77:80], off offset:2576 ; 16-byte Folded Spill
	v_fma_f64 v[163:164], v[56:57], v[77:78], -v[42:43]
	v_mul_f64 v[42:43], v[56:57], v[79:80]
	v_add_f64 v[80:81], v[212:213], -v[202:203]
	s_delay_alu instid0(VALU_DEP_2) | instskip(SKIP_4) | instid1(VALU_DEP_1)
	v_fma_f64 v[179:180], v[58:59], v[77:78], v[42:43]
	global_load_b128 v[56:59], v76, s[6:7] offset:80
	s_waitcnt vmcnt(1)
	scratch_store_b128 off, v[64:67], off offset:2592 ; 16-byte Folded Spill
	v_mul_f64 v[42:43], v[54:55], v[66:67]
	v_fma_f64 v[150:151], v[52:53], v[64:65], -v[42:43]
	v_mul_f64 v[42:43], v[52:53], v[66:67]
	s_waitcnt vmcnt(0)
	scratch_store_b128 off, v[56:59], off offset:2608 ; 16-byte Folded Spill
	v_fma_f64 v[154:155], v[54:55], v[64:65], v[42:43]
	v_mul_f64 v[42:43], v[50:51], v[58:59]
	s_delay_alu instid0(VALU_DEP_1) | instskip(SKIP_1) | instid1(VALU_DEP_1)
	v_fma_f64 v[168:169], v[48:49], v[56:57], -v[42:43]
	v_mul_f64 v[42:43], v[48:49], v[58:59]
	v_fma_f64 v[170:171], v[50:51], v[56:57], v[42:43]
	v_mul_u32_u24_e32 v42, 0x2493, v10
	s_delay_alu instid0(VALU_DEP_1) | instskip(NEXT) | instid1(VALU_DEP_1)
	v_lshrrev_b32_e32 v42, 16, v42
	v_sub_nc_u16 v43, v217, v42
	s_delay_alu instid0(VALU_DEP_1) | instskip(NEXT) | instid1(VALU_DEP_1)
	v_lshrrev_b16 v43, 1, v43
	v_add_nc_u16 v42, v43, v42
	s_delay_alu instid0(VALU_DEP_1) | instskip(NEXT) | instid1(VALU_DEP_1)
	v_lshrrev_b16 v10, 2, v42
	v_mul_lo_u16 v42, v10, 7
	scratch_store_b32 off, v10, off offset:1184 ; 4-byte Folded Spill
	v_sub_nc_u16 v48, v217, v42
	s_delay_alu instid0(VALU_DEP_1) | instskip(NEXT) | instid1(VALU_DEP_1)
	v_mul_lo_u16 v42, v48, 6
	v_and_b32_e32 v42, 0xffff, v42
	s_delay_alu instid0(VALU_DEP_1)
	v_lshlrev_b32_e32 v49, 4, v42
	s_clause 0x3
	global_load_b128 v[50:53], v49, s[6:7] offset:48
	global_load_b128 v[54:57], v49, s[6:7] offset:32
	;; [unrolled: 1-line block ×3, first 2 shown]
	global_load_b128 v[68:71], v49, s[6:7]
	s_waitcnt vmcnt(0) lgkmcnt(5)
	v_mul_f64 v[42:43], v[46:47], v[70:71]
	scratch_store_b128 off, v[68:71], off offset:2632 ; 16-byte Folded Spill
	v_fma_f64 v[184:185], v[44:45], v[68:69], -v[42:43]
	v_mul_f64 v[42:43], v[44:45], v[70:71]
	s_delay_alu instid0(VALU_DEP_1) | instskip(SKIP_2) | instid1(VALU_DEP_1)
	v_fma_f64 v[186:187], v[46:47], v[68:69], v[42:43]
	s_waitcnt lgkmcnt(4)
	v_mul_f64 v[42:43], v[34:35], v[66:67]
	v_fma_f64 v[10:11], v[32:33], v[64:65], -v[42:43]
	v_mul_f64 v[32:33], v[32:33], v[66:67]
	s_clause 0x1
	scratch_store_b64 off, v[10:11], off offset:1256
	scratch_store_b128 off, v[64:67], off offset:2648
	v_fma_f64 v[10:11], v[34:35], v[64:65], v[32:33]
	s_waitcnt lgkmcnt(3)
	v_mul_f64 v[32:33], v[30:31], v[56:57]
	s_clause 0x1
	scratch_store_b64 off, v[10:11], off offset:1272
	scratch_store_b128 off, v[54:57], off offset:2664
	v_fma_f64 v[10:11], v[28:29], v[54:55], -v[32:33]
	v_mul_f64 v[28:29], v[28:29], v[56:57]
	scratch_store_b64 off, v[10:11], off offset:1232 ; 8-byte Folded Spill
	v_fma_f64 v[10:11], v[30:31], v[54:55], v[28:29]
	s_waitcnt lgkmcnt(2)
	v_mul_f64 v[28:29], v[26:27], v[52:53]
	s_clause 0x1
	scratch_store_b64 off, v[10:11], off offset:1248
	scratch_store_b128 off, v[50:53], off offset:2680
	v_fma_f64 v[10:11], v[24:25], v[50:51], -v[28:29]
	v_mul_f64 v[24:25], v[24:25], v[52:53]
	scratch_store_b64 off, v[10:11], off offset:1288 ; 8-byte Folded Spill
	v_fma_f64 v[216:217], v[26:27], v[50:51], v[24:25]
	s_clause 0x1
	global_load_b128 v[26:29], v49, s[6:7] offset:80
	global_load_b128 v[30:33], v49, s[6:7] offset:64
	v_add_f64 v[10:11], v[246:247], -v[2:3]
	v_add_f64 v[51:52], v[236:237], -v[224:225]
	s_waitcnt vmcnt(1)
	scratch_store_b128 off, v[26:29], off offset:2712 ; 16-byte Folded Spill
	s_waitcnt vmcnt(0) lgkmcnt(1)
	v_mul_f64 v[24:25], v[22:23], v[32:33]
	scratch_store_b128 off, v[30:33], off offset:2696 ; 16-byte Folded Spill
	v_fma_f64 v[188:189], v[20:21], v[30:31], -v[24:25]
	v_mul_f64 v[20:21], v[20:21], v[32:33]
	v_add_f64 v[24:25], v[250:251], v[8:9]
	v_add_f64 v[8:9], v[8:9], -v[250:251]
	s_delay_alu instid0(VALU_DEP_3) | instskip(SKIP_3) | instid1(VALU_DEP_2)
	v_fma_f64 v[190:191], v[22:23], v[30:31], v[20:21]
	s_waitcnt lgkmcnt(0)
	v_mul_f64 v[20:21], v[18:19], v[28:29]
	v_add_f64 v[22:23], v[254:255], v[4:5]
	v_fma_f64 v[192:193], v[16:17], v[26:27], -v[20:21]
	v_mul_f64 v[16:17], v[16:17], v[28:29]
	v_add_f64 v[20:21], v[248:249], v[6:7]
	v_add_f64 v[6:7], v[248:249], -v[6:7]
	s_delay_alu instid0(VALU_DEP_3)
	v_fma_f64 v[194:195], v[18:19], v[26:27], v[16:17]
	v_add_f64 v[16:17], v[246:247], v[2:3]
	v_add_f64 v[18:19], v[38:39], v[0:1]
	v_add_f64 v[0:1], v[38:39], -v[0:1]
	v_add_f64 v[2:3], v[254:255], -v[4:5]
	v_add_f64 v[26:27], v[252:253], v[36:37]
	v_add_f64 v[4:5], v[36:37], -v[252:253]
	v_add_f64 v[36:37], v[8:9], v[6:7]
	v_add_f64 v[44:45], v[8:9], -v[6:7]
	v_add_f64 v[6:7], v[6:7], -v[10:11]
	v_add_f64 v[8:9], v[10:11], -v[8:9]
	v_add_f64 v[28:29], v[20:21], v[16:17]
	v_add_f64 v[30:31], v[22:23], v[18:19]
	v_add_f64 v[32:33], v[20:21], -v[16:17]
	v_add_f64 v[34:35], v[22:23], -v[18:19]
	v_add_f64 v[16:17], v[16:17], -v[24:25]
	v_add_f64 v[18:19], v[18:19], -v[26:27]
	v_add_f64 v[20:21], v[24:25], -v[20:21]
	v_add_f64 v[22:23], v[26:27], -v[22:23]
	v_add_f64 v[42:43], v[4:5], v[2:3]
	v_add_f64 v[46:47], v[4:5], -v[2:3]
	v_add_f64 v[2:3], v[2:3], -v[0:1]
	v_add_f64 v[4:5], v[0:1], -v[4:5]
	v_add_f64 v[10:11], v[36:37], v[10:11]
	v_mul_f64 v[36:37], v[6:7], s[4:5]
	v_add_f64 v[24:25], v[24:25], v[28:29]
	v_add_f64 v[26:27], v[26:27], v[30:31]
	v_mul_f64 v[28:29], v[44:45], s[22:23]
	v_add_f64 v[0:1], v[42:43], v[0:1]
	v_mul_f64 v[30:31], v[46:47], s[22:23]
	v_mul_f64 v[42:43], v[2:3], s[4:5]
	v_add_f64 v[76:77], v[12:13], v[24:25]
	v_add_f64 v[78:79], v[14:15], v[26:27]
	v_mul_f64 v[12:13], v[16:17], s[26:27]
	v_mul_f64 v[14:15], v[18:19], s[26:27]
	v_mul_f64 v[16:17], v[20:21], s[8:9]
	v_mul_f64 v[18:19], v[22:23], s[8:9]
	v_fma_f64 v[6:7], v[6:7], s[24:25], -v[28:29]
	v_fma_f64 v[2:3], v[2:3], s[24:25], -v[30:31]
	v_fma_f64 v[24:25], v[24:25], s[20:21], v[76:77]
	v_fma_f64 v[26:27], v[26:27], s[20:21], v[78:79]
	;; [unrolled: 1-line block ×4, first 2 shown]
	v_fma_f64 v[16:17], v[32:33], s[14:15], -v[16:17]
	v_fma_f64 v[18:19], v[34:35], s[14:15], -v[18:19]
	;; [unrolled: 1-line block ×4, first 2 shown]
	v_fma_f64 v[32:33], v[8:9], s[10:11], v[28:29]
	v_fma_f64 v[34:35], v[4:5], s[10:11], v[30:31]
	;; [unrolled: 1-line block ×6, first 2 shown]
	v_add_f64 v[36:37], v[20:21], v[24:25]
	v_add_f64 v[42:43], v[22:23], v[26:27]
	;; [unrolled: 1-line block ×6, first 2 shown]
	v_fma_f64 v[49:50], v[10:11], s[2:3], v[32:33]
	v_fma_f64 v[32:33], v[0:1], s[2:3], v[34:35]
	;; [unrolled: 1-line block ×4, first 2 shown]
	v_add_f64 v[10:11], v[230:231], v[240:241]
	v_add_f64 v[4:5], v[228:229], -v[242:243]
	v_add_f64 v[20:21], v[28:29], -v[2:3]
	v_add_f64 v[22:23], v[6:7], v[30:31]
	v_add_f64 v[24:25], v[2:3], v[28:29]
	v_add_f64 v[26:27], v[30:31], -v[6:7]
	v_add_f64 v[2:3], v[232:233], v[244:245]
	v_add_f64 v[16:17], v[32:33], v[36:37]
	v_add_f64 v[14:15], v[46:47], -v[8:9]
	v_add_f64 v[12:13], v[0:1], v[44:45]
	v_add_f64 v[28:29], v[44:45], -v[0:1]
	v_add_f64 v[30:31], v[8:9], v[46:47]
	v_add_f64 v[0:1], v[228:229], v[242:243]
	;; [unrolled: 1-line block ×3, first 2 shown]
	v_add_f64 v[18:19], v[42:43], -v[49:50]
	v_add_f64 v[32:33], v[36:37], -v[32:33]
	v_add_f64 v[34:35], v[49:50], v[42:43]
	v_add_f64 v[6:7], v[232:233], -v[244:245]
	v_add_f64 v[36:37], v[226:227], -v[238:239]
	;; [unrolled: 1-line block ×3, first 2 shown]
	v_add_f64 v[44:45], v[222:223], v[234:235]
	v_add_f64 v[46:47], v[224:225], v[236:237]
	v_add_f64 v[49:50], v[234:235], -v[222:223]
	v_add_f64 v[55:56], v[10:11], v[2:3]
	v_add_f64 v[64:65], v[10:11], -v[2:3]
	;; [unrolled: 2-line block ×3, first 2 shown]
	v_add_f64 v[74:75], v[36:37], -v[4:5]
	v_add_f64 v[68:69], v[51:52], v[42:43]
	v_add_f64 v[0:1], v[0:1], -v[44:45]
	v_add_f64 v[2:3], v[2:3], -v[46:47]
	;; [unrolled: 1-line block ×4, first 2 shown]
	v_add_f64 v[66:67], v[49:50], v[36:37]
	v_add_f64 v[70:71], v[49:50], -v[36:37]
	v_add_f64 v[72:73], v[51:52], -v[42:43]
	;; [unrolled: 1-line block ×5, first 2 shown]
	v_add_f64 v[46:47], v[46:47], v[55:56]
	v_add_f64 v[44:45], v[44:45], v[53:54]
	;; [unrolled: 1-line block ×3, first 2 shown]
	v_mul_f64 v[0:1], v[0:1], s[26:27]
	v_mul_f64 v[2:3], v[2:3], s[26:27]
	;; [unrolled: 1-line block ×4, first 2 shown]
	v_add_f64 v[4:5], v[66:67], v[4:5]
	v_mul_f64 v[55:56], v[70:71], s[22:23]
	v_mul_f64 v[66:67], v[72:73], s[22:23]
	;; [unrolled: 1-line block ×4, first 2 shown]
	v_add_f64 v[72:73], v[202:203], v[212:213]
	v_add_f64 v[38:39], v[62:63], v[46:47]
	;; [unrolled: 1-line block ×3, first 2 shown]
	v_fma_f64 v[8:9], v[8:9], s[8:9], v[0:1]
	v_fma_f64 v[10:11], v[10:11], s[8:9], v[2:3]
	v_fma_f64 v[40:41], v[57:58], s[14:15], -v[40:41]
	v_fma_f64 v[53:54], v[64:65], s[14:15], -v[53:54]
	;; [unrolled: 1-line block ×4, first 2 shown]
	v_fma_f64 v[57:58], v[49:50], s[10:11], v[55:56]
	v_fma_f64 v[64:65], v[51:52], s[10:11], v[66:67]
	v_fma_f64 v[55:56], v[74:75], s[24:25], -v[55:56]
	v_fma_f64 v[42:43], v[42:43], s[24:25], -v[66:67]
	v_fma_f64 v[49:50], v[49:50], s[18:19], v[68:69]
	v_fma_f64 v[51:52], v[51:52], s[18:19], v[70:71]
	v_add_f64 v[74:75], v[210:211], -v[198:199]
	v_fma_f64 v[46:47], v[46:47], s[20:21], v[38:39]
	v_fma_f64 v[44:45], v[44:45], s[20:21], v[36:37]
	;; [unrolled: 1-line block ×8, first 2 shown]
	v_add_f64 v[49:50], v[198:199], v[210:211]
	v_add_f64 v[10:11], v[10:11], v[46:47]
	;; [unrolled: 1-line block ×7, first 2 shown]
	v_add_f64 v[224:225], v[10:11], -v[70:71]
	v_add_f64 v[54:55], v[58:59], v[66:67]
	v_add_f64 v[46:47], v[2:3], -v[4:5]
	v_add_f64 v[58:59], v[66:67], -v[58:59]
	v_add_f64 v[66:67], v[4:5], v[2:3]
	v_add_f64 v[70:71], v[70:71], v[10:11]
	;; [unrolled: 1-line block ×5, first 2 shown]
	v_add_f64 v[64:65], v[0:1], -v[6:7]
	v_add_f64 v[68:69], v[8:9], -v[68:69]
	v_add_f64 v[0:1], v[165:166], v[218:219]
	v_add_f64 v[8:9], v[200:201], v[214:215]
	;; [unrolled: 1-line block ×3, first 2 shown]
	v_add_f64 v[52:53], v[40:41], -v[42:43]
	v_add_f64 v[56:57], v[42:43], v[40:41]
	v_add_f64 v[4:5], v[165:166], -v[218:219]
	v_add_f64 v[6:7], v[161:162], -v[220:221]
	;; [unrolled: 1-line block ×5, first 2 shown]
	v_add_f64 v[82:83], v[8:9], v[0:1]
	v_add_f64 v[84:85], v[10:11], v[2:3]
	v_add_f64 v[86:87], v[8:9], -v[0:1]
	v_add_f64 v[88:89], v[10:11], -v[2:3]
	;; [unrolled: 1-line block ×6, first 2 shown]
	v_add_f64 v[90:91], v[74:75], v[40:41]
	v_add_f64 v[92:93], v[80:81], v[42:43]
	v_add_f64 v[94:95], v[74:75], -v[40:41]
	v_add_f64 v[96:97], v[80:81], -v[42:43]
	;; [unrolled: 1-line block ×6, first 2 shown]
	v_add_f64 v[49:50], v[49:50], v[82:83]
	v_add_f64 v[72:73], v[72:73], v[84:85]
	v_mul_f64 v[0:1], v[0:1], s[26:27]
	v_mul_f64 v[2:3], v[2:3], s[26:27]
	;; [unrolled: 1-line block ×4, first 2 shown]
	v_add_f64 v[4:5], v[90:91], v[4:5]
	v_add_f64 v[6:7], v[92:93], v[6:7]
	v_mul_f64 v[82:83], v[94:95], s[22:23]
	v_mul_f64 v[84:85], v[96:97], s[22:23]
	v_mul_f64 v[90:91], v[98:99], s[4:5]
	v_mul_f64 v[92:93], v[102:103], s[4:5]
	v_add_f64 v[40:41], v[206:207], v[49:50]
	v_add_f64 v[42:43], v[208:209], v[72:73]
	v_fma_f64 v[8:9], v[8:9], s[8:9], v[0:1]
	v_fma_f64 v[10:11], v[10:11], s[8:9], v[2:3]
	v_fma_f64 v[60:61], v[86:87], s[14:15], -v[60:61]
	v_fma_f64 v[62:63], v[88:89], s[14:15], -v[62:63]
	;; [unrolled: 1-line block ×4, first 2 shown]
	v_fma_f64 v[86:87], v[74:75], s[10:11], v[82:83]
	v_fma_f64 v[88:89], v[80:81], s[10:11], v[84:85]
	v_fma_f64 v[82:83], v[98:99], s[24:25], -v[82:83]
	v_fma_f64 v[84:85], v[102:103], s[24:25], -v[84:85]
	v_fma_f64 v[74:75], v[74:75], s[18:19], v[90:91]
	v_fma_f64 v[80:81], v[80:81], s[18:19], v[92:93]
	v_add_f64 v[102:103], v[114:115], -v[116:117]
	v_fma_f64 v[49:50], v[49:50], s[20:21], v[40:41]
	v_fma_f64 v[72:73], v[72:73], s[20:21], v[42:43]
	;; [unrolled: 1-line block ×6, first 2 shown]
	v_add_f64 v[8:9], v[8:9], v[49:50]
	v_add_f64 v[10:11], v[10:11], v[72:73]
	;; [unrolled: 1-line block ×6, first 2 shown]
	v_fma_f64 v[49:50], v[4:5], s[2:3], v[86:87]
	v_fma_f64 v[4:5], v[4:5], s[2:3], v[74:75]
	v_add_f64 v[80:81], v[96:97], v[8:9]
	v_add_f64 v[96:97], v[8:9], -v[96:97]
	v_add_f64 v[84:85], v[60:61], -v[88:89]
	v_add_f64 v[86:87], v[90:91], v[62:63]
	v_add_f64 v[72:73], v[6:7], v[0:1]
	;; [unrolled: 1-line block ×3, first 2 shown]
	v_add_f64 v[82:83], v[10:11], -v[49:50]
	v_add_f64 v[74:75], v[2:3], -v[4:5]
	;; [unrolled: 1-line block ×4, first 2 shown]
	v_add_f64 v[94:95], v[4:5], v[2:3]
	v_add_f64 v[98:99], v[49:50], v[10:11]
	;; [unrolled: 1-line block ×4, first 2 shown]
	v_add_f64 v[6:7], v[122:123], -v[100:101]
	v_add_f64 v[8:9], v[120:121], v[110:111]
	v_add_f64 v[10:11], v[118:119], v[104:105]
	v_add_f64 v[49:50], v[120:121], -v[110:111]
	v_add_f64 v[60:61], v[118:119], -v[104:105]
	v_add_f64 v[62:63], v[116:117], v[114:115]
	v_add_f64 v[100:101], v[112:113], v[108:109]
	v_add_f64 v[104:105], v[108:109], -v[112:113]
	v_add_f64 v[4:5], v[124:125], -v[106:107]
	v_add_f64 v[106:107], v[8:9], v[0:1]
	v_add_f64 v[108:109], v[10:11], v[2:3]
	v_add_f64 v[110:111], v[8:9], -v[0:1]
	v_add_f64 v[112:113], v[10:11], -v[2:3]
	v_add_f64 v[114:115], v[62:63], -v[8:9]
	;; [unrolled: 1-line block ×3, first 2 shown]
	v_add_f64 v[8:9], v[102:103], v[49:50]
	v_add_f64 v[10:11], v[104:105], v[60:61]
	v_add_f64 v[118:119], v[102:103], -v[49:50]
	v_add_f64 v[120:121], v[104:105], -v[60:61]
	;; [unrolled: 1-line block ×8, first 2 shown]
	v_add_f64 v[62:63], v[62:63], v[106:107]
	v_add_f64 v[100:101], v[100:101], v[108:109]
	v_mul_f64 v[106:107], v[114:115], s[8:9]
	v_mul_f64 v[108:109], v[116:117], s[8:9]
	v_add_f64 v[4:5], v[8:9], v[4:5]
	v_add_f64 v[6:7], v[10:11], v[6:7]
	scratch_load_b128 v[8:11], off, off offset:1216 ; 16-byte Folded Reload
	v_mul_f64 v[118:119], v[118:119], s[22:23]
	v_mul_f64 v[120:121], v[120:121], s[22:23]
	v_mul_f64 v[122:123], v[49:50], s[4:5]
	v_mul_f64 v[124:125], v[60:61], s[4:5]
	v_mul_f64 v[0:1], v[0:1], s[26:27]
	v_mul_f64 v[2:3], v[2:3], s[26:27]
	v_fma_f64 v[106:107], v[110:111], s[14:15], -v[106:107]
	v_fma_f64 v[108:109], v[112:113], s[14:15], -v[108:109]
	;; [unrolled: 1-line block ×4, first 2 shown]
	v_fma_f64 v[114:115], v[114:115], s[8:9], v[0:1]
	v_fma_f64 v[116:117], v[116:117], s[8:9], v[2:3]
	v_fma_f64 v[0:1], v[110:111], s[16:17], -v[0:1]
	v_fma_f64 v[2:3], v[112:113], s[16:17], -v[2:3]
	v_fma_f64 v[110:111], v[102:103], s[10:11], v[118:119]
	v_fma_f64 v[112:113], v[104:105], s[10:11], v[120:121]
	;; [unrolled: 1-line block ×7, first 2 shown]
	s_delay_alu instid0(VALU_DEP_4) | instskip(SKIP_3) | instid1(VALU_DEP_2)
	v_fma_f64 v[6:7], v[6:7], s[2:3], v[104:105]
	s_waitcnt vmcnt(0)
	v_add_f64 v[8:9], v[8:9], v[62:63]
	v_add_f64 v[10:11], v[10:11], v[100:101]
	v_fma_f64 v[62:63], v[62:63], s[20:21], v[8:9]
	s_delay_alu instid0(VALU_DEP_2) | instskip(NEXT) | instid1(VALU_DEP_2)
	v_fma_f64 v[100:101], v[100:101], s[20:21], v[10:11]
	v_add_f64 v[120:121], v[114:115], v[62:63]
	s_delay_alu instid0(VALU_DEP_2)
	v_add_f64 v[122:123], v[116:117], v[100:101]
	v_add_f64 v[114:115], v[106:107], v[62:63]
	;; [unrolled: 1-line block ×5, first 2 shown]
	v_fma_f64 v[62:63], v[4:5], s[2:3], v[110:111]
	v_fma_f64 v[4:5], v[4:5], s[2:3], v[102:103]
	v_add_f64 v[104:105], v[124:125], v[120:121]
	v_add_f64 v[120:121], v[120:121], -v[124:125]
	v_add_f64 v[108:109], v[114:115], -v[60:61]
	v_add_f64 v[110:111], v[49:50], v[116:117]
	v_add_f64 v[100:101], v[6:7], v[0:1]
	;; [unrolled: 1-line block ×3, first 2 shown]
	v_add_f64 v[106:107], v[122:123], -v[62:63]
	v_add_f64 v[102:103], v[2:3], -v[4:5]
	;; [unrolled: 1-line block ×4, first 2 shown]
	v_add_f64 v[118:119], v[4:5], v[2:3]
	v_add_f64 v[122:123], v[62:63], v[122:123]
	;; [unrolled: 1-line block ×4, first 2 shown]
	v_add_f64 v[4:5], v[132:133], -v[144:145]
	v_add_f64 v[49:50], v[126:127], v[140:141]
	v_add_f64 v[60:61], v[130:131], v[142:143]
	v_add_f64 v[62:63], v[126:127], -v[140:141]
	v_add_f64 v[124:125], v[130:131], -v[142:143]
	v_add_f64 v[130:131], v[128:129], v[138:139]
	v_add_f64 v[132:133], v[136:137], -v[148:149]
	v_add_f64 v[128:129], v[138:139], -v[128:129]
	;; [unrolled: 1-line block ×3, first 2 shown]
	v_add_f64 v[126:127], v[148:149], v[136:137]
	v_add_f64 v[134:135], v[49:50], v[0:1]
	;; [unrolled: 1-line block ×3, first 2 shown]
	v_add_f64 v[138:139], v[49:50], -v[0:1]
	v_add_f64 v[140:141], v[60:61], -v[2:3]
	;; [unrolled: 1-line block ×3, first 2 shown]
	v_add_f64 v[142:143], v[132:133], v[62:63]
	v_add_f64 v[144:145], v[128:129], v[124:125]
	v_add_f64 v[60:61], v[130:131], -v[60:61]
	v_add_f64 v[0:1], v[0:1], -v[126:127]
	;; [unrolled: 1-line block ×9, first 2 shown]
	v_add_f64 v[126:127], v[126:127], v[134:135]
	v_add_f64 v[130:131], v[130:131], v[136:137]
	v_mul_f64 v[2:3], v[2:3], s[26:27]
	v_add_f64 v[134:135], v[142:143], v[4:5]
	v_add_f64 v[136:137], v[144:145], v[6:7]
	scratch_load_b128 v[4:7], off, off offset:1200 ; 16-byte Folded Reload
	v_mul_f64 v[0:1], v[0:1], s[26:27]
	v_mul_f64 v[142:143], v[49:50], s[8:9]
	;; [unrolled: 1-line block ×7, first 2 shown]
	v_fma_f64 v[60:61], v[60:61], s[8:9], v[2:3]
	v_fma_f64 v[2:3], v[140:141], s[16:17], -v[2:3]
	v_fma_f64 v[49:50], v[49:50], s[8:9], v[0:1]
	v_fma_f64 v[142:143], v[138:139], s[14:15], -v[142:143]
	v_fma_f64 v[144:145], v[140:141], s[14:15], -v[144:145]
	;; [unrolled: 1-line block ×3, first 2 shown]
	v_fma_f64 v[138:139], v[132:133], s[10:11], v[146:147]
	v_fma_f64 v[140:141], v[128:129], s[10:11], v[148:149]
	v_fma_f64 v[62:63], v[62:63], s[24:25], -v[146:147]
	v_fma_f64 v[124:125], v[124:125], s[24:25], -v[148:149]
	v_fma_f64 v[132:133], v[132:133], s[18:19], v[198:199]
	v_fma_f64 v[128:129], v[128:129], s[18:19], v[200:201]
	;; [unrolled: 1-line block ×8, first 2 shown]
	s_waitcnt vmcnt(0)
	v_add_f64 v[4:5], v[4:5], v[126:127]
	v_add_f64 v[6:7], v[6:7], v[130:131]
	s_delay_alu instid0(VALU_DEP_2) | instskip(NEXT) | instid1(VALU_DEP_2)
	v_fma_f64 v[126:127], v[126:127], s[20:21], v[4:5]
	v_fma_f64 v[130:131], v[130:131], s[20:21], v[6:7]
	s_delay_alu instid0(VALU_DEP_2) | instskip(NEXT) | instid1(VALU_DEP_2)
	v_add_f64 v[49:50], v[49:50], v[126:127]
	v_add_f64 v[60:61], v[60:61], v[130:131]
	;; [unrolled: 1-line block ×7, first 2 shown]
	v_add_f64 v[130:131], v[60:61], -v[146:147]
	v_add_f64 v[132:133], v[142:143], -v[138:139]
	v_add_f64 v[134:135], v[62:63], v[144:145]
	v_add_f64 v[124:125], v[140:141], v[0:1]
	v_add_f64 v[126:127], v[2:3], -v[198:199]
	v_add_f64 v[136:137], v[138:139], v[142:143]
	v_add_f64 v[138:139], v[144:145], -v[62:63]
	v_add_f64 v[140:141], v[0:1], -v[140:141]
	v_add_f64 v[142:143], v[198:199], v[2:3]
	v_add_f64 v[144:145], v[49:50], -v[148:149]
	v_add_f64 v[146:147], v[146:147], v[60:61]
	v_add_f64 v[0:1], v[152:153], v[168:169]
	;; [unrolled: 1-line block ×3, first 2 shown]
	v_add_f64 v[49:50], v[152:153], -v[168:169]
	v_add_f64 v[60:61], v[158:159], -v[170:171]
	v_add_f64 v[62:63], v[177:178], v[150:151]
	v_add_f64 v[148:149], v[156:157], v[154:155]
	v_add_f64 v[152:153], v[177:178], -v[150:151]
	v_add_f64 v[154:155], v[156:157], -v[154:155]
	v_add_f64 v[156:157], v[175:176], v[163:164]
	v_add_f64 v[158:159], v[173:174], v[179:180]
	v_add_f64 v[150:151], v[179:180], -v[173:174]
	s_clause 0x1
	scratch_load_b64 v[175:176], off, off offset:1256
	scratch_load_b64 v[178:179], off, off offset:1272
	v_add_f64 v[162:163], v[62:63], v[0:1]
	v_add_f64 v[164:165], v[148:149], v[2:3]
	v_add_f64 v[166:167], v[62:63], -v[0:1]
	v_add_f64 v[168:169], v[148:149], -v[2:3]
	;; [unrolled: 1-line block ×4, first 2 shown]
	v_add_f64 v[0:1], v[160:161], v[152:153]
	v_add_f64 v[2:3], v[150:151], v[154:155]
	v_add_f64 v[198:199], v[160:161], -v[152:153]
	v_add_f64 v[200:201], v[150:151], -v[154:155]
	;; [unrolled: 1-line block ×8, first 2 shown]
	v_add_f64 v[156:157], v[156:157], v[162:163]
	v_add_f64 v[158:159], v[158:159], v[164:165]
	v_mul_f64 v[162:163], v[170:171], s[26:27]
	v_mul_f64 v[164:165], v[173:174], s[26:27]
	v_add_f64 v[49:50], v[0:1], v[49:50]
	v_add_f64 v[60:61], v[2:3], v[60:61]
	scratch_load_b128 v[0:3], off, off offset:988 ; 16-byte Folded Reload
	v_mul_f64 v[198:199], v[198:199], s[22:23]
	v_mul_f64 v[200:201], v[200:201], s[22:23]
	;; [unrolled: 1-line block ×6, first 2 shown]
	v_fma_f64 v[62:63], v[62:63], s[8:9], v[162:163]
	v_fma_f64 v[148:149], v[148:149], s[8:9], v[164:165]
	v_fma_f64 v[162:163], v[166:167], s[16:17], -v[162:163]
	v_fma_f64 v[164:165], v[168:169], s[16:17], -v[164:165]
	;; [unrolled: 1-line block ×6, first 2 shown]
	v_fma_f64 v[166:167], v[160:161], s[10:11], v[198:199]
	v_fma_f64 v[168:169], v[150:151], s[10:11], v[200:201]
	;; [unrolled: 1-line block ×4, first 2 shown]
	s_delay_alu instid0(VALU_DEP_4) | instskip(NEXT) | instid1(VALU_DEP_4)
	v_fma_f64 v[204:205], v[49:50], s[2:3], v[166:167]
	v_fma_f64 v[168:169], v[60:61], s[2:3], v[168:169]
	s_waitcnt vmcnt(0)
	v_add_f64 v[0:1], v[0:1], v[156:157]
	v_add_f64 v[2:3], v[2:3], v[158:159]
	s_delay_alu instid0(VALU_DEP_2) | instskip(NEXT) | instid1(VALU_DEP_2)
	v_fma_f64 v[156:157], v[156:157], s[20:21], v[0:1]
	v_fma_f64 v[158:159], v[158:159], s[20:21], v[2:3]
	s_delay_alu instid0(VALU_DEP_2) | instskip(SKIP_1) | instid1(VALU_DEP_3)
	v_add_f64 v[62:63], v[62:63], v[156:157]
	v_add_f64 v[200:201], v[162:163], v[156:157]
	;; [unrolled: 1-line block ×3, first 2 shown]
	v_fma_f64 v[162:163], v[49:50], s[2:3], v[152:153]
	v_fma_f64 v[49:50], v[49:50], s[2:3], v[160:161]
	v_fma_f64 v[164:165], v[60:61], s[2:3], v[154:155]
	v_fma_f64 v[60:61], v[60:61], s[2:3], v[150:151]
	v_add_f64 v[170:171], v[170:171], v[156:157]
	v_add_f64 v[173:174], v[173:174], v[158:159]
	;; [unrolled: 1-line block ×4, first 2 shown]
	v_add_f64 v[168:169], v[62:63], -v[168:169]
	v_add_f64 v[62:63], v[184:185], -v[192:193]
	v_add_f64 v[150:151], v[202:203], -v[49:50]
	v_add_f64 v[166:167], v[49:50], v[202:203]
	v_add_f64 v[49:50], v[184:185], v[192:193]
	s_clause 0x2
	scratch_load_b64 v[180:181], off, off offset:1232
	scratch_load_b64 v[192:193], off, off offset:1288
	;; [unrolled: 1-line block ×3, first 2 shown]
	v_add_f64 v[148:149], v[60:61], v[200:201]
	v_add_f64 v[156:157], v[170:171], -v[164:165]
	v_add_f64 v[158:159], v[162:163], v[173:174]
	v_add_f64 v[160:161], v[164:165], v[170:171]
	v_add_f64 v[162:163], v[173:174], -v[162:163]
	v_add_f64 v[164:165], v[200:201], -v[60:61]
	v_add_f64 v[60:61], v[186:187], v[194:195]
	v_add_f64 v[173:174], v[186:187], -v[194:195]
	v_add_f64 v[184:185], v[175:176], v[188:189]
	v_add_f64 v[186:187], v[178:179], v[190:191]
	v_add_f64 v[176:177], v[175:176], -v[188:189]
	v_add_f64 v[178:179], v[178:179], -v[190:191]
	;; [unrolled: 1-line block ×3, first 2 shown]
	v_add_f64 v[170:171], v[204:205], v[198:199]
	v_add_f64 v[198:199], v[184:185], -v[49:50]
	v_add_f64 v[194:195], v[186:187], v[60:61]
	v_add_f64 v[200:201], v[186:187], -v[60:61]
	s_waitcnt vmcnt(1)
	v_add_f64 v[188:189], v[180:181], v[192:193]
	s_waitcnt vmcnt(0)
	v_add_f64 v[190:191], v[182:183], v[216:217]
	v_add_f64 v[180:181], v[192:193], -v[180:181]
	v_add_f64 v[192:193], v[184:185], v[49:50]
	v_add_f64 v[182:183], v[216:217], -v[182:183]
	v_add_f64 v[49:50], v[49:50], -v[188:189]
	;; [unrolled: 1-line block ×3, first 2 shown]
	v_add_f64 v[60:61], v[180:181], v[176:177]
	v_add_f64 v[184:185], v[188:189], -v[184:185]
	v_add_f64 v[206:207], v[180:181], -v[176:177]
	;; [unrolled: 1-line block ×4, first 2 shown]
	v_add_f64 v[188:189], v[188:189], v[192:193]
	v_add_f64 v[186:187], v[190:191], -v[186:187]
	v_add_f64 v[204:205], v[182:183], v[178:179]
	v_add_f64 v[208:209], v[182:183], -v[178:179]
	v_add_f64 v[178:179], v[178:179], -v[173:174]
	;; [unrolled: 1-line block ×3, first 2 shown]
	v_add_f64 v[190:191], v[190:191], v[194:195]
	v_mul_f64 v[49:50], v[49:50], s[26:27]
	v_mul_f64 v[194:195], v[202:203], s[26:27]
	v_add_f64 v[192:193], v[60:61], v[62:63]
	scratch_load_b128 v[60:63], off, off offset:908 ; 16-byte Folded Reload
	v_mul_f64 v[202:203], v[184:185], s[8:9]
	v_mul_f64 v[206:207], v[206:207], s[22:23]
	;; [unrolled: 1-line block ×3, first 2 shown]
	s_waitcnt vmcnt(0)
	s_waitcnt_vscnt null, 0x0
	s_barrier
	v_add_f64 v[173:174], v[204:205], v[173:174]
	v_mul_f64 v[204:205], v[186:187], s[8:9]
	v_mul_f64 v[208:209], v[208:209], s[22:23]
	;; [unrolled: 1-line block ×3, first 2 shown]
	buffer_gl0_inv
	v_fma_f64 v[184:185], v[184:185], s[8:9], v[49:50]
	v_fma_f64 v[186:187], v[186:187], s[8:9], v[194:195]
	v_fma_f64 v[49:50], v[198:199], s[16:17], -v[49:50]
	v_fma_f64 v[194:195], v[200:201], s[16:17], -v[194:195]
	;; [unrolled: 1-line block ×3, first 2 shown]
	v_fma_f64 v[198:199], v[180:181], s[10:11], v[206:207]
	v_fma_f64 v[176:177], v[176:177], s[24:25], -v[206:207]
	v_fma_f64 v[180:181], v[180:181], s[18:19], v[210:211]
	v_fma_f64 v[204:205], v[200:201], s[14:15], -v[204:205]
	;; [unrolled: 2-line block ×3, first 2 shown]
	v_fma_f64 v[182:183], v[182:183], s[18:19], v[212:213]
	v_fma_f64 v[210:211], v[192:193], s[2:3], v[198:199]
	s_delay_alu instid0(VALU_DEP_4) | instskip(SKIP_3) | instid1(VALU_DEP_2)
	v_fma_f64 v[198:199], v[173:174], s[2:3], v[200:201]
	v_fma_f64 v[200:201], v[192:193], s[2:3], v[180:181]
	v_add_f64 v[60:61], v[60:61], v[188:189]
	v_add_f64 v[62:63], v[62:63], v[190:191]
	v_fma_f64 v[188:189], v[188:189], s[20:21], v[60:61]
	s_delay_alu instid0(VALU_DEP_2) | instskip(NEXT) | instid1(VALU_DEP_2)
	v_fma_f64 v[190:191], v[190:191], s[20:21], v[62:63]
	v_add_f64 v[206:207], v[184:185], v[188:189]
	v_add_f64 v[202:203], v[202:203], v[188:189]
	;; [unrolled: 1-line block ×3, first 2 shown]
	v_fma_f64 v[188:189], v[173:174], s[2:3], v[178:179]
	v_fma_f64 v[173:174], v[173:174], s[2:3], v[182:183]
	v_add_f64 v[208:209], v[186:187], v[190:191]
	v_add_f64 v[204:205], v[204:205], v[190:191]
	;; [unrolled: 1-line block ×3, first 2 shown]
	v_fma_f64 v[190:191], v[192:193], s[2:3], v[176:177]
	v_add_f64 v[176:177], v[198:199], v[206:207]
	v_add_f64 v[198:199], v[206:207], -v[198:199]
	v_add_f64 v[184:185], v[202:203], -v[188:189]
	v_add_f64 v[180:181], v[173:174], v[49:50]
	v_add_f64 v[192:193], v[49:50], -v[173:174]
	s_clause 0x1
	scratch_load_b32 v49, off, off offset:924
	scratch_load_b32 v50, off, off offset:940
	v_add_f64 v[178:179], v[208:209], -v[210:211]
	v_add_f64 v[182:183], v[194:195], -v[200:201]
	v_add_f64 v[186:187], v[190:191], v[204:205]
	v_add_f64 v[188:189], v[188:189], v[202:203]
	v_add_f64 v[190:191], v[204:205], -v[190:191]
	v_add_f64 v[194:195], v[200:201], v[194:195]
	v_add_f64 v[200:201], v[210:211], v[208:209]
	s_waitcnt vmcnt(1)
	v_and_b32_e32 v49, 0xffff, v49
	s_delay_alu instid0(VALU_DEP_1) | instskip(SKIP_1) | instid1(VALU_DEP_1)
	v_mul_u32_u24_e32 v49, 49, v49
	s_waitcnt vmcnt(0)
	v_add_lshl_u32 v49, v49, v50, 4
	scratch_store_b32 off, v49, off offset:2752 ; 4-byte Folded Spill
	ds_store_b128 v49, v[76:79]
	ds_store_b128 v49, v[16:19] offset:112
	ds_store_b128 v49, v[12:15] offset:224
	ds_store_b128 v49, v[20:23] offset:336
	ds_store_b128 v49, v[24:27] offset:448
	ds_store_b128 v49, v[28:31] offset:560
	ds_store_b128 v49, v[32:35] offset:672
	s_clause 0x1
	scratch_load_b32 v12, off, off offset:956
	scratch_load_b32 v13, off, off offset:972
	s_waitcnt vmcnt(1)
	v_and_b32_e32 v12, 0xffff, v12
	s_delay_alu instid0(VALU_DEP_1) | instskip(SKIP_1) | instid1(VALU_DEP_1)
	v_mul_u32_u24_e32 v12, 49, v12
	s_waitcnt vmcnt(0)
	v_add_lshl_u32 v12, v12, v13, 4
	scratch_store_b32 off, v12, off offset:2744 ; 4-byte Folded Spill
	ds_store_b128 v12, v[36:39]
	ds_store_b128 v12, v[222:225] offset:112
	ds_store_b128 v12, v[44:47] offset:224
	ds_store_b128 v12, v[52:55] offset:336
	ds_store_b128 v12, v[56:59] offset:448
	ds_store_b128 v12, v[64:67] offset:560
	ds_store_b128 v12, v[68:71] offset:672
	s_clause 0x1
	scratch_load_b32 v12, off, off offset:1004
	scratch_load_b32 v13, off, off offset:1084
	;; [unrolled: 17-line block ×4, first 2 shown]
	s_waitcnt vmcnt(1)
	v_and_b32_e32 v8, 0xffff, v8
	s_delay_alu instid0(VALU_DEP_1) | instskip(SKIP_1) | instid1(VALU_DEP_1)
	v_mul_u32_u24_e32 v8, 49, v8
	s_waitcnt vmcnt(0)
	v_add_lshl_u32 v8, v8, v9, 4
	scratch_store_b32 off, v8, off offset:2228 ; 4-byte Folded Spill
	ds_store_b128 v8, v[4:7]
	ds_store_b128 v8, v[128:131] offset:112
	ds_store_b128 v8, v[124:127] offset:224
	;; [unrolled: 1-line block ×6, first 2 shown]
	scratch_load_b32 v4, off, off offset:1168 ; 4-byte Folded Reload
	s_waitcnt vmcnt(0)
	v_mad_u16 v4, v4, 49, v172
	s_delay_alu instid0(VALU_DEP_1) | instskip(NEXT) | instid1(VALU_DEP_1)
	v_and_b32_e32 v4, 0xffff, v4
	v_lshlrev_b32_e32 v4, 4, v4
	scratch_store_b32 off, v4, off offset:1528 ; 4-byte Folded Spill
	ds_store_b128 v4, v[0:3]
	ds_store_b128 v4, v[152:155] offset:112
	ds_store_b128 v4, v[148:151] offset:224
	;; [unrolled: 1-line block ×6, first 2 shown]
	scratch_load_b32 v0, off, off offset:1184 ; 4-byte Folded Reload
	s_waitcnt vmcnt(0)
	v_mad_u16 v0, v0, 49, v48
	s_delay_alu instid0(VALU_DEP_1) | instskip(NEXT) | instid1(VALU_DEP_1)
	v_and_b32_e32 v0, 0xffff, v0
	v_lshlrev_b32_e32 v0, 4, v0
	scratch_store_b32 off, v0, off offset:924 ; 4-byte Folded Spill
	ds_store_b128 v0, v[60:63]
	ds_store_b128 v0, v[176:179] offset:112
	ds_store_b128 v0, v[180:183] offset:224
	;; [unrolled: 1-line block ×6, first 2 shown]
	s_waitcnt lgkmcnt(0)
	s_waitcnt_vscnt null, 0x0
	s_barrier
	buffer_gl0_inv
	ds_load_b128 v[12:15], v196
	ds_load_b128 v[192:195], v196 offset:5488
	ds_load_b128 v[188:191], v196 offset:10976
	;; [unrolled: 1-line block ×42, first 2 shown]
	s_waitcnt lgkmcnt(0)
	scratch_store_b128 off, v[0:3], off offset:1084 ; 16-byte Folded Spill
	ds_load_b128 v[44:47], v196 offset:10192
	ds_load_b128 v[40:43], v196 offset:15680
	;; [unrolled: 1-line block ×6, first 2 shown]
	scratch_load_b32 v0, off, off           ; 4-byte Folded Reload
	s_waitcnt vmcnt(0)
	v_mad_u64_u32 v[8:9], null, 0x60, v0, s[6:7]
	s_clause 0x5
	global_load_b128 v[216:219], v[8:9], off offset:720
	global_load_b128 v[224:227], v[8:9], off offset:704
	;; [unrolled: 1-line block ×6, first 2 shown]
	s_waitcnt vmcnt(5)
	scratch_store_b128 off, v[216:219], off offset:1232 ; 16-byte Folded Spill
	s_waitcnt vmcnt(4)
	scratch_store_b128 off, v[224:227], off offset:1200 ; 16-byte Folded Spill
	s_waitcnt vmcnt(2)
	v_mul_f64 v[0:1], v[194:195], v[234:235]
	s_delay_alu instid0(VALU_DEP_1) | instskip(SKIP_1) | instid1(VALU_DEP_1)
	v_fma_f64 v[38:39], v[192:193], v[232:233], -v[0:1]
	v_mul_f64 v[0:1], v[192:193], v[234:235]
	v_fma_f64 v[18:19], v[194:195], v[232:233], v[0:1]
	v_mul_f64 v[0:1], v[190:191], v[238:239]
	s_delay_alu instid0(VALU_DEP_1) | instskip(SKIP_1) | instid1(VALU_DEP_1)
	v_fma_f64 v[50:51], v[188:189], v[236:237], -v[0:1]
	v_mul_f64 v[0:1], v[188:189], v[238:239]
	v_fma_f64 v[36:37], v[190:191], v[236:237], v[0:1]
	;; [unrolled: 5-line block ×4, first 2 shown]
	s_waitcnt vmcnt(0)
	v_mul_f64 v[0:1], v[178:179], v[230:231]
	s_delay_alu instid0(VALU_DEP_1) | instskip(SKIP_1) | instid1(VALU_DEP_1)
	v_fma_f64 v[6:7], v[176:177], v[228:229], -v[0:1]
	v_mul_f64 v[0:1], v[176:177], v[230:231]
	v_fma_f64 v[4:5], v[178:179], v[228:229], v[0:1]
	v_mul_f64 v[0:1], v[174:175], v[244:245]
	s_delay_alu instid0(VALU_DEP_1) | instskip(SKIP_2) | instid1(VALU_DEP_2)
	v_fma_f64 v[2:3], v[172:173], v[242:243], -v[0:1]
	v_mul_f64 v[0:1], v[172:173], v[244:245]
	v_mul_f64 v[172:173], v[170:171], v[234:235]
	v_fma_f64 v[0:1], v[174:175], v[242:243], v[0:1]
	s_delay_alu instid0(VALU_DEP_2) | instskip(SKIP_1) | instid1(VALU_DEP_1)
	v_fma_f64 v[172:173], v[168:169], v[232:233], -v[172:173]
	v_mul_f64 v[168:169], v[168:169], v[234:235]
	v_fma_f64 v[168:169], v[170:171], v[232:233], v[168:169]
	v_mul_f64 v[170:171], v[166:167], v[238:239]
	s_delay_alu instid0(VALU_DEP_1) | instskip(SKIP_1) | instid1(VALU_DEP_1)
	v_fma_f64 v[212:213], v[164:165], v[236:237], -v[170:171]
	v_mul_f64 v[164:165], v[164:165], v[238:239]
	v_fma_f64 v[214:215], v[166:167], v[236:237], v[164:165]
	v_mul_f64 v[164:165], v[162:163], v[226:227]
	s_delay_alu instid0(VALU_DEP_1) | instskip(SKIP_1) | instid1(VALU_DEP_1)
	;; [unrolled: 5-line block ×3, first 2 shown]
	v_fma_f64 v[250:251], v[156:157], v[216:217], -v[162:163]
	v_mul_f64 v[156:157], v[156:157], v[218:219]
	v_fma_f64 v[252:253], v[158:159], v[216:217], v[156:157]
	v_mul_f64 v[156:157], v[154:155], v[230:231]
	scratch_load_b32 v158, off, off offset:876 ; 4-byte Folded Reload
	v_fma_f64 v[156:157], v[152:153], v[228:229], -v[156:157]
	v_mul_f64 v[152:153], v[152:153], v[230:231]
	s_delay_alu instid0(VALU_DEP_1) | instskip(SKIP_1) | instid1(VALU_DEP_1)
	v_fma_f64 v[154:155], v[154:155], v[228:229], v[152:153]
	v_mul_f64 v[152:153], v[150:151], v[244:245]
	v_fma_f64 v[152:153], v[148:149], v[242:243], -v[152:153]
	v_mul_f64 v[148:149], v[148:149], v[244:245]
	s_delay_alu instid0(VALU_DEP_1) | instskip(SKIP_3) | instid1(VALU_DEP_1)
	v_fma_f64 v[148:149], v[150:151], v[242:243], v[148:149]
	scratch_load_b32 v150, off, off offset:796 ; 4-byte Folded Reload
	s_waitcnt vmcnt(0)
	v_mul_lo_u16 v150, 0x4f, v150
	v_lshrrev_b16 v150, 8, v150
	s_delay_alu instid0(VALU_DEP_1) | instskip(NEXT) | instid1(VALU_DEP_1)
	v_sub_nc_u16 v151, v158, v150
	v_lshrrev_b16 v151, 1, v151
	s_delay_alu instid0(VALU_DEP_1) | instskip(NEXT) | instid1(VALU_DEP_1)
	v_and_b32_e32 v151, 0x7f, v151
	v_add_nc_u16 v150, v151, v150
	s_delay_alu instid0(VALU_DEP_1) | instskip(NEXT) | instid1(VALU_DEP_1)
	v_lshrrev_b16 v150, 5, v150
	v_mul_lo_u16 v150, v150, 49
	s_delay_alu instid0(VALU_DEP_1) | instskip(NEXT) | instid1(VALU_DEP_1)
	v_sub_nc_u16 v150, v158, v150
	v_and_b32_e32 v150, 0xff, v150
	s_delay_alu instid0(VALU_DEP_1)
	v_mad_u64_u32 v[158:159], null, 0x60, v150, s[6:7]
	scratch_store_b32 off, v150, off offset:796 ; 4-byte Folded Spill
	s_clause 0x3
	global_load_b128 v[176:179], v[158:159], off offset:720
	global_load_b128 v[180:183], v[158:159], off offset:704
	;; [unrolled: 1-line block ×4, first 2 shown]
	s_waitcnt vmcnt(3)
	scratch_store_b128 off, v[176:179], off offset:972 ; 16-byte Folded Spill
	s_waitcnt vmcnt(2)
	scratch_store_b128 off, v[180:183], off offset:956 ; 16-byte Folded Spill
	;; [unrolled: 2-line block ×3, first 2 shown]
	s_waitcnt vmcnt(0)
	v_mul_f64 v[150:151], v[146:147], v[192:193]
	scratch_store_b128 off, v[190:193], off offset:908 ; 16-byte Folded Spill
	v_fma_f64 v[150:151], v[144:145], v[190:191], -v[150:151]
	v_mul_f64 v[144:145], v[144:145], v[192:193]
	s_delay_alu instid0(VALU_DEP_1) | instskip(SKIP_1) | instid1(VALU_DEP_1)
	v_fma_f64 v[218:219], v[146:147], v[190:191], v[144:145]
	v_mul_f64 v[144:145], v[142:143], v[186:187]
	v_fma_f64 v[144:145], v[140:141], v[184:185], -v[144:145]
	v_mul_f64 v[140:141], v[140:141], v[186:187]
	s_delay_alu instid0(VALU_DEP_1) | instskip(SKIP_1) | instid1(VALU_DEP_1)
	v_fma_f64 v[140:141], v[142:143], v[184:185], v[140:141]
	v_mul_f64 v[142:143], v[138:139], v[182:183]
	;; [unrolled: 5-line block ×3, first 2 shown]
	v_fma_f64 v[224:225], v[132:133], v[176:177], -v[138:139]
	v_mul_f64 v[132:133], v[132:133], v[178:179]
	s_delay_alu instid0(VALU_DEP_1)
	v_fma_f64 v[226:227], v[134:135], v[176:177], v[132:133]
	s_clause 0x1
	global_load_b128 v[176:179], v[158:159], off offset:752
	global_load_b128 v[180:183], v[158:159], off offset:736
	s_waitcnt vmcnt(1)
	scratch_store_b128 off, v[176:179], off offset:1004 ; 16-byte Folded Spill
	s_waitcnt vmcnt(0)
	v_mul_f64 v[132:133], v[130:131], v[182:183]
	scratch_store_b128 off, v[180:183], off offset:988 ; 16-byte Folded Spill
	v_fma_f64 v[240:241], v[128:129], v[180:181], -v[132:133]
	v_mul_f64 v[128:129], v[128:129], v[182:183]
	s_delay_alu instid0(VALU_DEP_1) | instskip(SKIP_4) | instid1(VALU_DEP_1)
	v_fma_f64 v[254:255], v[130:131], v[180:181], v[128:129]
	v_mul_f64 v[128:129], v[126:127], v[178:179]
	scratch_load_b32 v130, off, off offset:892 ; 4-byte Folded Reload
	v_fma_f64 v[128:129], v[124:125], v[176:177], -v[128:129]
	v_mul_f64 v[124:125], v[124:125], v[178:179]
	v_fma_f64 v[124:125], v[126:127], v[176:177], v[124:125]
	scratch_load_b32 v126, off, off offset:812 ; 4-byte Folded Reload
	s_waitcnt vmcnt(0)
	v_mul_lo_u16 v126, 0x4f, v126
	s_delay_alu instid0(VALU_DEP_1) | instskip(NEXT) | instid1(VALU_DEP_1)
	v_lshrrev_b16 v126, 8, v126
	v_sub_nc_u16 v127, v130, v126
	s_delay_alu instid0(VALU_DEP_1) | instskip(NEXT) | instid1(VALU_DEP_1)
	v_lshrrev_b16 v127, 1, v127
	v_and_b32_e32 v127, 0x7f, v127
	s_delay_alu instid0(VALU_DEP_1) | instskip(NEXT) | instid1(VALU_DEP_1)
	v_add_nc_u16 v126, v127, v126
	v_lshrrev_b16 v126, 5, v126
	s_delay_alu instid0(VALU_DEP_1) | instskip(NEXT) | instid1(VALU_DEP_1)
	v_mul_lo_u16 v126, v126, 49
	v_sub_nc_u16 v126, v130, v126
	s_delay_alu instid0(VALU_DEP_1) | instskip(NEXT) | instid1(VALU_DEP_1)
	v_and_b32_e32 v126, 0xff, v126
	v_mad_u64_u32 v[130:131], null, 0x60, v126, s[6:7]
	scratch_store_b32 off, v126, off offset:812 ; 4-byte Folded Spill
	s_clause 0x3
	global_load_b128 v[132:135], v[130:131], off offset:720
	global_load_b128 v[176:179], v[130:131], off offset:704
	;; [unrolled: 1-line block ×4, first 2 shown]
	s_waitcnt vmcnt(3)
	scratch_store_b128 off, v[132:135], off offset:1168 ; 16-byte Folded Spill
	s_waitcnt vmcnt(2)
	scratch_store_b128 off, v[176:179], off offset:1148 ; 16-byte Folded Spill
	;; [unrolled: 2-line block ×3, first 2 shown]
	s_waitcnt vmcnt(0)
	v_mul_f64 v[126:127], v[122:123], v[186:187]
	scratch_store_b128 off, v[184:187], off offset:1116 ; 16-byte Folded Spill
	v_fma_f64 v[126:127], v[120:121], v[184:185], -v[126:127]
	v_mul_f64 v[120:121], v[120:121], v[186:187]
	s_delay_alu instid0(VALU_DEP_1) | instskip(SKIP_1) | instid1(VALU_DEP_1)
	v_fma_f64 v[122:123], v[122:123], v[184:185], v[120:121]
	v_mul_f64 v[120:121], v[118:119], v[182:183]
	v_fma_f64 v[120:121], v[116:117], v[180:181], -v[120:121]
	v_mul_f64 v[116:117], v[116:117], v[182:183]
	s_delay_alu instid0(VALU_DEP_1) | instskip(SKIP_1) | instid1(VALU_DEP_1)
	v_fma_f64 v[118:119], v[118:119], v[180:181], v[116:117]
	v_mul_f64 v[116:117], v[114:115], v[178:179]
	;; [unrolled: 5-line block ×3, first 2 shown]
	v_fma_f64 v[114:115], v[108:109], v[132:133], -v[114:115]
	v_mul_f64 v[108:109], v[108:109], v[134:135]
	s_delay_alu instid0(VALU_DEP_1)
	v_fma_f64 v[108:109], v[110:111], v[132:133], v[108:109]
	s_clause 0x1
	global_load_b128 v[132:135], v[130:131], off offset:752
	global_load_b128 v[176:179], v[130:131], off offset:736
	scratch_load_b32 v130, off, off offset:1052 ; 4-byte Folded Reload
	s_waitcnt vmcnt(2)
	scratch_store_b128 off, v[132:135], off offset:1216 ; 16-byte Folded Spill
	s_waitcnt vmcnt(1)
	v_mul_f64 v[110:111], v[106:107], v[178:179]
	scratch_store_b128 off, v[176:179], off offset:1184 ; 16-byte Folded Spill
	v_fma_f64 v[110:111], v[104:105], v[176:177], -v[110:111]
	v_mul_f64 v[104:105], v[104:105], v[178:179]
	s_delay_alu instid0(VALU_DEP_1) | instskip(SKIP_1) | instid1(VALU_DEP_1)
	v_fma_f64 v[104:105], v[106:107], v[176:177], v[104:105]
	v_mul_f64 v[106:107], v[102:103], v[134:135]
	v_fma_f64 v[106:107], v[100:101], v[132:133], -v[106:107]
	v_mul_f64 v[100:101], v[100:101], v[134:135]
	s_delay_alu instid0(VALU_DEP_1) | instskip(SKIP_3) | instid1(VALU_DEP_1)
	v_fma_f64 v[100:101], v[102:103], v[132:133], v[100:101]
	scratch_load_b32 v102, off, off offset:828 ; 4-byte Folded Reload
	s_waitcnt vmcnt(0)
	v_mul_lo_u16 v102, 0x4f, v102
	v_lshrrev_b16 v102, 8, v102
	s_delay_alu instid0(VALU_DEP_1) | instskip(NEXT) | instid1(VALU_DEP_1)
	v_sub_nc_u16 v103, v130, v102
	v_lshrrev_b16 v103, 1, v103
	s_delay_alu instid0(VALU_DEP_1) | instskip(NEXT) | instid1(VALU_DEP_1)
	v_and_b32_e32 v103, 0x7f, v103
	v_add_nc_u16 v102, v103, v102
	s_delay_alu instid0(VALU_DEP_1) | instskip(NEXT) | instid1(VALU_DEP_1)
	v_lshrrev_b16 v102, 5, v102
	v_mul_lo_u16 v102, v102, 49
	s_delay_alu instid0(VALU_DEP_1) | instskip(NEXT) | instid1(VALU_DEP_1)
	v_sub_nc_u16 v102, v130, v102
	v_and_b32_e32 v130, 0xff, v102
	s_delay_alu instid0(VALU_DEP_1)
	v_mad_u64_u32 v[102:103], null, 0x60, v130, s[6:7]
	scratch_store_b32 off, v130, off offset:828 ; 4-byte Folded Spill
	s_clause 0x3
	global_load_b128 v[132:135], v[102:103], off offset:720
	global_load_b128 v[176:179], v[102:103], off offset:704
	;; [unrolled: 1-line block ×4, first 2 shown]
	s_waitcnt vmcnt(0)
	v_mul_f64 v[130:131], v[98:99], v[186:187]
	scratch_store_b128 off, v[184:187], off offset:1352 ; 16-byte Folded Spill
	v_fma_f64 v[162:163], v[96:97], v[184:185], -v[130:131]
	v_mul_f64 v[96:97], v[96:97], v[186:187]
	s_delay_alu instid0(VALU_DEP_1) | instskip(SKIP_1) | instid1(VALU_DEP_1)
	v_fma_f64 v[158:159], v[98:99], v[184:185], v[96:97]
	v_mul_f64 v[96:97], v[94:95], v[182:183]
	v_fma_f64 v[170:171], v[92:93], v[180:181], -v[96:97]
	v_mul_f64 v[92:93], v[92:93], v[182:183]
	s_delay_alu instid0(VALU_DEP_1)
	v_fma_f64 v[166:167], v[94:95], v[180:181], v[92:93]
	v_mov_b32_e32 v94, v176
	v_dual_mov_b32 v96, v178 :: v_dual_mov_b32 v97, v179
	v_mov_b32_e32 v95, v177
	scratch_store_b128 off, v[180:183], off offset:1368 ; 16-byte Folded Spill
	v_mul_f64 v[92:93], v[90:91], v[96:97]
	scratch_store_b128 off, v[94:97], off offset:1384 ; 16-byte Folded Spill
	v_fma_f64 v[178:179], v[88:89], v[94:95], -v[92:93]
	v_mul_f64 v[88:89], v[88:89], v[96:97]
	s_delay_alu instid0(VALU_DEP_1) | instskip(SKIP_3) | instid1(VALU_DEP_2)
	v_fma_f64 v[176:177], v[90:91], v[94:95], v[88:89]
	v_mov_b32_e32 v90, v132
	v_dual_mov_b32 v92, v134 :: v_dual_mov_b32 v93, v135
	v_mov_b32_e32 v91, v133
	v_mul_f64 v[88:89], v[86:87], v[92:93]
	scratch_store_b128 off, v[90:93], off offset:1400 ; 16-byte Folded Spill
	v_fma_f64 v[134:135], v[84:85], v[90:91], -v[88:89]
	v_mul_f64 v[84:85], v[84:85], v[92:93]
	s_delay_alu instid0(VALU_DEP_1)
	v_fma_f64 v[138:139], v[86:87], v[90:91], v[84:85]
	s_clause 0x1
	global_load_b128 v[86:89], v[102:103], off offset:752
	global_load_b128 v[90:93], v[102:103], off offset:736
	s_waitcnt vmcnt(1)
	scratch_store_b128 off, v[86:89], off offset:1432 ; 16-byte Folded Spill
	s_waitcnt vmcnt(0)
	scratch_store_b128 off, v[90:93], off offset:1416 ; 16-byte Folded Spill
	v_mul_f64 v[84:85], v[82:83], v[92:93]
	s_delay_alu instid0(VALU_DEP_1) | instskip(SKIP_1) | instid1(VALU_DEP_1)
	v_fma_f64 v[132:133], v[80:81], v[90:91], -v[84:85]
	v_mul_f64 v[80:81], v[80:81], v[92:93]
	v_fma_f64 v[142:143], v[82:83], v[90:91], v[80:81]
	v_mul_f64 v[80:81], v[78:79], v[88:89]
	s_delay_alu instid0(VALU_DEP_1) | instskip(SKIP_1) | instid1(VALU_DEP_1)
	v_fma_f64 v[130:131], v[76:77], v[86:87], -v[80:81]
	v_mul_f64 v[76:77], v[76:77], v[88:89]
	v_fma_f64 v[146:147], v[78:79], v[86:87], v[76:77]
	s_clause 0x1
	scratch_load_b32 v76, off, off offset:860
	scratch_load_b32 v78, off, off offset:1068
	s_waitcnt vmcnt(1)
	v_mul_u32_u24_e32 v76, 0x4e5f, v76
	s_delay_alu instid0(VALU_DEP_1) | instskip(SKIP_1) | instid1(VALU_DEP_1)
	v_lshrrev_b32_e32 v76, 16, v76
	s_waitcnt vmcnt(0)
	v_sub_nc_u16 v77, v78, v76
	s_delay_alu instid0(VALU_DEP_1) | instskip(NEXT) | instid1(VALU_DEP_1)
	v_lshrrev_b16 v77, 1, v77
	v_add_nc_u16 v76, v77, v76
	s_delay_alu instid0(VALU_DEP_1) | instskip(NEXT) | instid1(VALU_DEP_1)
	v_lshrrev_b16 v76, 5, v76
	v_mul_lo_u16 v76, v76, 49
	s_delay_alu instid0(VALU_DEP_1) | instskip(NEXT) | instid1(VALU_DEP_1)
	v_sub_nc_u16 v76, v78, v76
	v_mul_lo_u16 v77, 0x60, v76
	s_delay_alu instid0(VALU_DEP_1) | instskip(NEXT) | instid1(VALU_DEP_1)
	v_and_b32_e32 v77, 0xffff, v77
	v_add_co_u32 v79, s28, s6, v77
	s_delay_alu instid0(VALU_DEP_1)
	v_add_co_ci_u32_e64 v80, null, s7, 0, s28
	s_clause 0x3
	global_load_b128 v[81:84], v[79:80], off offset:720
	global_load_b128 v[85:88], v[79:80], off offset:704
	;; [unrolled: 1-line block ×4, first 2 shown]
	s_waitcnt vmcnt(1)
	scratch_store_b128 off, v[89:92], off offset:1644 ; 16-byte Folded Spill
	s_waitcnt vmcnt(0)
	v_mul_f64 v[77:78], v[74:75], v[95:96]
	scratch_store_b128 off, v[93:96], off offset:1612 ; 16-byte Folded Spill
	v_fma_f64 v[216:217], v[72:73], v[93:94], -v[77:78]
	v_mul_f64 v[72:73], v[72:73], v[95:96]
	s_delay_alu instid0(VALU_DEP_1) | instskip(SKIP_2) | instid1(VALU_DEP_2)
	v_fma_f64 v[77:78], v[74:75], v[93:94], v[72:73]
	v_mul_f64 v[72:73], v[70:71], v[91:92]
	v_add_f64 v[74:75], v[224:225], -v[174:175]
	v_fma_f64 v[72:73], v[68:69], v[89:90], -v[72:73]
	v_mul_f64 v[68:69], v[68:69], v[91:92]
	scratch_store_b64 off, v[72:73], off offset:1336 ; 8-byte Folded Spill
	v_fma_f64 v[68:69], v[70:71], v[89:90], v[68:69]
	s_clause 0x1
	scratch_store_b64 off, v[68:69], off offset:1512
	scratch_store_b128 off, v[85:88], off offset:1676
	v_mul_f64 v[68:69], v[66:67], v[87:88]
	v_add_f64 v[72:73], v[136:137], v[226:227]
	s_delay_alu instid0(VALU_DEP_2)
	v_fma_f64 v[68:69], v[64:65], v[85:86], -v[68:69]
	v_mul_f64 v[64:65], v[64:65], v[87:88]
	scratch_store_b64 off, v[68:69], off offset:1304 ; 8-byte Folded Spill
	v_fma_f64 v[64:65], v[66:67], v[85:86], v[64:65]
	s_clause 0x1
	scratch_store_b64 off, v[64:65], off offset:1320
	scratch_store_b128 off, v[81:84], off offset:1692
	v_mul_f64 v[64:65], v[62:63], v[83:84]
	s_delay_alu instid0(VALU_DEP_1) | instskip(SKIP_1) | instid1(VALU_DEP_1)
	v_fma_f64 v[198:199], v[60:61], v[81:82], -v[64:65]
	v_mul_f64 v[60:61], v[60:61], v[83:84]
	v_fma_f64 v[190:191], v[62:63], v[81:82], v[60:61]
	s_clause 0x1
	global_load_b128 v[62:65], v[79:80], off offset:752
	global_load_b128 v[66:69], v[79:80], off offset:736
	v_add_f64 v[80:81], v[226:227], -v[136:137]
	v_add_f64 v[136:137], v[138:139], -v[176:177]
	s_waitcnt vmcnt(1)
	scratch_store_b128 off, v[62:65], off offset:1724 ; 16-byte Folded Spill
	s_waitcnt vmcnt(0)
	v_mul_f64 v[60:61], v[58:59], v[68:69]
	scratch_store_b128 off, v[66:69], off offset:1708 ; 16-byte Folded Spill
	v_fma_f64 v[186:187], v[56:57], v[66:67], -v[60:61]
	v_mul_f64 v[56:57], v[56:57], v[68:69]
	s_delay_alu instid0(VALU_DEP_1) | instskip(SKIP_1) | instid1(VALU_DEP_1)
	v_fma_f64 v[184:185], v[58:59], v[66:67], v[56:57]
	v_mul_f64 v[56:57], v[54:55], v[64:65]
	v_fma_f64 v[182:183], v[52:53], v[62:63], -v[56:57]
	v_mul_f64 v[52:53], v[52:53], v[64:65]
	s_delay_alu instid0(VALU_DEP_1)
	v_fma_f64 v[180:181], v[54:55], v[62:63], v[52:53]
	s_clause 0x1
	scratch_load_b32 v52, off, off offset:844
	scratch_load_b32 v54, off, off offset:1036
	s_waitcnt vmcnt(1)
	v_mul_u32_u24_e32 v52, 0x4e5f, v52
	s_delay_alu instid0(VALU_DEP_1) | instskip(SKIP_1) | instid1(VALU_DEP_1)
	v_lshrrev_b32_e32 v52, 16, v52
	s_waitcnt vmcnt(0)
	v_sub_nc_u16 v53, v54, v52
	s_delay_alu instid0(VALU_DEP_1) | instskip(NEXT) | instid1(VALU_DEP_1)
	v_lshrrev_b16 v53, 1, v53
	v_add_nc_u16 v52, v53, v52
	s_delay_alu instid0(VALU_DEP_1) | instskip(NEXT) | instid1(VALU_DEP_1)
	v_lshrrev_b16 v52, 5, v52
	v_mul_lo_u16 v52, v52, 49
	s_delay_alu instid0(VALU_DEP_1) | instskip(NEXT) | instid1(VALU_DEP_1)
	v_sub_nc_u16 v79, v54, v52
	v_mul_lo_u16 v52, 0x60, v79
	s_delay_alu instid0(VALU_DEP_1) | instskip(NEXT) | instid1(VALU_DEP_1)
	v_and_b32_e32 v52, 0xffff, v52
	v_add_co_u32 v52, s28, s6, v52
	s_delay_alu instid0(VALU_DEP_1)
	v_add_co_ci_u32_e64 v53, null, s7, 0, s28
	s_clause 0x3
	global_load_b128 v[56:59], v[52:53], off offset:720
	global_load_b128 v[60:63], v[52:53], off offset:704
	;; [unrolled: 1-line block ×4, first 2 shown]
	s_waitcnt vmcnt(0) lgkmcnt(5)
	v_mul_f64 v[54:55], v[46:47], v[70:71]
	s_delay_alu instid0(VALU_DEP_1)
	v_fma_f64 v[54:55], v[44:45], v[68:69], -v[54:55]
	v_mul_f64 v[44:45], v[44:45], v[70:71]
	s_clause 0x1
	scratch_store_b64 off, v[54:55], off offset:1068
	scratch_store_b128 off, v[68:71], off offset:1908
	v_fma_f64 v[44:45], v[46:47], v[68:69], v[44:45]
	s_clause 0x1
	scratch_store_b64 off, v[44:45], off offset:1100
	scratch_store_b128 off, v[64:67], off offset:1924
	s_waitcnt lgkmcnt(4)
	v_mul_f64 v[44:45], v[42:43], v[66:67]
	s_delay_alu instid0(VALU_DEP_1)
	v_fma_f64 v[44:45], v[40:41], v[64:65], -v[44:45]
	v_mul_f64 v[40:41], v[40:41], v[66:67]
	scratch_store_b64 off, v[44:45], off offset:876 ; 8-byte Folded Spill
	v_fma_f64 v[40:41], v[42:43], v[64:65], v[40:41]
	s_clause 0x1
	scratch_store_b64 off, v[40:41], off offset:892
	scratch_store_b128 off, v[60:63], off offset:1940
	s_waitcnt lgkmcnt(3)
	v_mul_f64 v[40:41], v[34:35], v[62:63]
	s_delay_alu instid0(VALU_DEP_1)
	v_fma_f64 v[40:41], v[32:33], v[60:61], -v[40:41]
	v_mul_f64 v[32:33], v[32:33], v[62:63]
	scratch_store_b64 off, v[40:41], off offset:844 ; 8-byte Folded Spill
	v_fma_f64 v[32:33], v[34:35], v[60:61], v[32:33]
	s_clause 0x1
	scratch_store_b64 off, v[32:33], off offset:860
	scratch_store_b128 off, v[56:59], off offset:1972
	s_waitcnt lgkmcnt(2)
	v_mul_f64 v[32:33], v[30:31], v[58:59]
	s_delay_alu instid0(VALU_DEP_1) | instskip(SKIP_1) | instid1(VALU_DEP_1)
	v_fma_f64 v[32:33], v[28:29], v[56:57], -v[32:33]
	v_mul_f64 v[28:29], v[28:29], v[58:59]
	v_fma_f64 v[28:29], v[30:31], v[56:57], v[28:29]
	s_clause 0x1
	scratch_store_b64 off, v[32:33], off offset:1036
	scratch_store_b64 off, v[28:29], off offset:1052
	s_clause 0x1
	global_load_b128 v[30:33], v[52:53], off offset:752
	global_load_b128 v[40:43], v[52:53], off offset:736
	s_waitcnt vmcnt(0) lgkmcnt(1)
	v_mul_f64 v[28:29], v[26:27], v[42:43]
	s_delay_alu instid0(VALU_DEP_1)
	v_fma_f64 v[28:29], v[24:25], v[40:41], -v[28:29]
	v_mul_f64 v[24:25], v[24:25], v[42:43]
	s_clause 0x1
	scratch_store_b64 off, v[28:29], off offset:1248
	scratch_store_b128 off, v[40:43], off offset:2004
	v_fma_f64 v[24:25], v[26:27], v[40:41], v[24:25]
	s_clause 0x1
	scratch_store_b64 off, v[24:25], off offset:1256
	scratch_store_b128 off, v[30:33], off offset:2020
	s_waitcnt lgkmcnt(0)
	v_mul_f64 v[24:25], v[22:23], v[32:33]
	v_add_f64 v[26:27], v[188:189], v[16:17]
	v_add_f64 v[28:29], v[48:49], v[10:11]
	v_add_f64 v[16:17], v[16:17], -v[188:189]
	v_add_f64 v[10:11], v[10:11], -v[48:49]
	v_fma_f64 v[24:25], v[20:21], v[30:31], -v[24:25]
	v_mul_f64 v[20:21], v[20:21], v[32:33]
	s_delay_alu instid0(VALU_DEP_1)
	v_fma_f64 v[20:21], v[22:23], v[30:31], v[20:21]
	scratch_store_b64 off, v[24:25], off offset:1272 ; 8-byte Folded Spill
	v_add_f64 v[22:23], v[18:19], v[0:1]
	v_add_f64 v[0:1], v[18:19], -v[0:1]
	v_add_f64 v[18:19], v[50:51], v[6:7]
	v_add_f64 v[24:25], v[36:37], v[4:5]
	v_add_f64 v[6:7], v[50:51], -v[6:7]
	v_add_f64 v[4:5], v[36:37], -v[4:5]
	scratch_store_b64 off, v[20:21], off offset:1288 ; 8-byte Folded Spill
	v_add_f64 v[20:21], v[38:39], v[2:3]
	v_add_f64 v[2:3], v[38:39], -v[2:3]
	v_add_f64 v[32:33], v[24:25], v[22:23]
	v_add_f64 v[36:37], v[24:25], -v[22:23]
	v_add_f64 v[22:23], v[22:23], -v[28:29]
	;; [unrolled: 1-line block ×3, first 2 shown]
	v_add_f64 v[38:39], v[16:17], v[6:7]
	v_add_f64 v[40:41], v[10:11], v[4:5]
	v_add_f64 v[42:43], v[16:17], -v[6:7]
	v_add_f64 v[44:45], v[10:11], -v[4:5]
	;; [unrolled: 1-line block ×4, first 2 shown]
	v_add_f64 v[30:31], v[18:19], v[20:21]
	v_add_f64 v[34:35], v[18:19], -v[20:21]
	v_add_f64 v[20:21], v[20:21], -v[26:27]
	;; [unrolled: 1-line block ×4, first 2 shown]
	v_add_f64 v[28:29], v[28:29], v[32:33]
	v_add_f64 v[16:17], v[2:3], -v[16:17]
	v_mul_f64 v[22:23], v[22:23], s[26:27]
	v_add_f64 v[2:3], v[38:39], v[2:3]
	v_add_f64 v[0:1], v[40:41], v[0:1]
	v_mul_f64 v[32:33], v[24:25], s[8:9]
	v_mul_f64 v[38:39], v[42:43], s[22:23]
	;; [unrolled: 1-line block ×4, first 2 shown]
	v_add_f64 v[26:27], v[26:27], v[30:31]
	v_mul_f64 v[20:21], v[20:21], s[26:27]
	v_mul_f64 v[30:31], v[18:19], s[8:9]
	;; [unrolled: 1-line block ×3, first 2 shown]
	v_add_f64 v[14:15], v[14:15], v[28:29]
	v_fma_f64 v[24:25], v[24:25], s[8:9], v[22:23]
	v_fma_f64 v[22:23], v[36:37], s[16:17], -v[22:23]
	v_fma_f64 v[32:33], v[36:37], s[14:15], -v[32:33]
	;; [unrolled: 1-line block ×3, first 2 shown]
	v_fma_f64 v[36:37], v[10:11], s[10:11], v[40:41]
	v_fma_f64 v[4:5], v[4:5], s[24:25], -v[40:41]
	v_fma_f64 v[10:11], v[10:11], s[18:19], v[44:45]
	v_add_f64 v[44:45], v[252:253], -v[160:161]
	v_add_f64 v[12:13], v[12:13], v[26:27]
	v_fma_f64 v[18:19], v[18:19], s[8:9], v[20:21]
	v_fma_f64 v[30:31], v[34:35], s[14:15], -v[30:31]
	v_fma_f64 v[20:21], v[34:35], s[16:17], -v[20:21]
	v_fma_f64 v[28:29], v[28:29], s[20:21], v[14:15]
	v_fma_f64 v[34:35], v[16:17], s[10:11], v[38:39]
	;; [unrolled: 1-line block ×7, first 2 shown]
	v_add_f64 v[10:11], v[212:213], v[156:157]
	v_fma_f64 v[26:27], v[26:27], s[20:21], v[12:13]
	v_add_f64 v[42:43], v[22:23], v[28:29]
	v_fma_f64 v[34:35], v[2:3], s[2:3], v[34:35]
	v_fma_f64 v[2:3], v[2:3], s[2:3], v[16:17]
	v_add_f64 v[38:39], v[24:25], v[28:29]
	v_add_f64 v[32:33], v[32:33], v[28:29]
	;; [unrolled: 1-line block ×6, first 2 shown]
	v_add_f64 v[62:63], v[42:43], -v[2:3]
	v_add_f64 v[22:23], v[38:39], -v[34:35]
	v_add_f64 v[26:27], v[6:7], v[32:33]
	v_add_f64 v[194:195], v[32:33], -v[6:7]
	v_add_f64 v[34:35], v[34:35], v[38:39]
	;; [unrolled: 2-line block ×4, first 2 shown]
	v_add_f64 v[192:193], v[4:5], v[30:31]
	v_add_f64 v[28:29], v[40:41], -v[0:1]
	v_add_f64 v[30:31], v[2:3], v[42:43]
	v_add_f64 v[0:1], v[172:173], v[152:153]
	;; [unrolled: 1-line block ×4, first 2 shown]
	v_add_f64 v[32:33], v[18:19], -v[36:37]
	v_add_f64 v[4:5], v[172:173], -v[152:153]
	;; [unrolled: 1-line block ×4, first 2 shown]
	v_add_f64 v[40:41], v[160:161], v[252:253]
	v_add_f64 v[42:43], v[250:251], -v[164:165]
	scratch_load_b64 v[156:157], off, off offset:1304 ; 8-byte Folded Reload
	v_add_f64 v[46:47], v[10:11], v[0:1]
	v_add_f64 v[48:49], v[16:17], v[2:3]
	v_add_f64 v[50:51], v[10:11], -v[0:1]
	v_add_f64 v[52:53], v[16:17], -v[2:3]
	;; [unrolled: 1-line block ×4, first 2 shown]
	v_add_f64 v[56:57], v[44:45], v[36:37]
	v_add_f64 v[2:3], v[2:3], -v[40:41]
	v_add_f64 v[16:17], v[40:41], -v[16:17]
	v_add_f64 v[54:55], v[42:43], v[18:19]
	v_add_f64 v[58:59], v[42:43], -v[18:19]
	v_add_f64 v[64:65], v[44:45], -v[36:37]
	;; [unrolled: 1-line block ×6, first 2 shown]
	v_add_f64 v[46:47], v[38:39], v[46:47]
	v_add_f64 v[40:41], v[40:41], v[48:49]
	v_mul_f64 v[0:1], v[0:1], s[26:27]
	v_mul_f64 v[48:49], v[10:11], s[8:9]
	v_add_f64 v[6:7], v[56:57], v[6:7]
	v_mul_f64 v[2:3], v[2:3], s[26:27]
	v_add_f64 v[4:5], v[54:55], v[4:5]
	v_mul_f64 v[54:55], v[16:17], s[8:9]
	v_mul_f64 v[56:57], v[58:59], s[22:23]
	;; [unrolled: 1-line block ×5, first 2 shown]
	v_add_f64 v[36:37], v[246:247], v[46:47]
	v_add_f64 v[38:39], v[248:249], v[40:41]
	v_fma_f64 v[10:11], v[10:11], s[8:9], v[0:1]
	v_fma_f64 v[48:49], v[50:51], s[14:15], -v[48:49]
	v_fma_f64 v[0:1], v[50:51], s[16:17], -v[0:1]
	v_fma_f64 v[16:17], v[16:17], s[8:9], v[2:3]
	v_fma_f64 v[2:3], v[52:53], s[16:17], -v[2:3]
	v_fma_f64 v[54:55], v[52:53], s[14:15], -v[54:55]
	v_fma_f64 v[50:51], v[42:43], s[10:11], v[56:57]
	v_fma_f64 v[52:53], v[44:45], s[10:11], v[58:59]
	v_fma_f64 v[18:19], v[18:19], s[24:25], -v[56:57]
	v_fma_f64 v[56:57], v[66:67], s[24:25], -v[58:59]
	v_fma_f64 v[42:43], v[42:43], s[18:19], v[64:65]
	v_fma_f64 v[44:45], v[44:45], s[18:19], v[68:69]
	;; [unrolled: 1-line block ×10, first 2 shown]
	v_add_f64 v[10:11], v[10:11], v[46:47]
	v_add_f64 v[16:17], v[16:17], v[40:41]
	;; [unrolled: 1-line block ×7, first 2 shown]
	v_add_f64 v[46:47], v[16:17], -v[50:51]
	v_add_f64 v[40:41], v[6:7], v[0:1]
	v_add_f64 v[42:43], v[2:3], -v[4:5]
	v_add_f64 v[64:65], v[0:1], -v[6:7]
	v_add_f64 v[66:67], v[4:5], v[2:3]
	v_add_f64 v[68:69], v[10:11], -v[68:69]
	v_add_f64 v[70:71], v[50:51], v[16:17]
	v_add_f64 v[0:1], v[150:151], v[128:129]
	;; [unrolled: 1-line block ×5, first 2 shown]
	v_add_f64 v[52:53], v[48:49], -v[56:57]
	v_add_f64 v[54:55], v[18:19], v[58:59]
	v_add_f64 v[56:57], v[56:57], v[48:49]
	v_add_f64 v[58:59], v[58:59], -v[18:19]
	v_add_f64 v[4:5], v[150:151], -v[128:129]
	;; [unrolled: 1-line block ×5, first 2 shown]
	v_add_f64 v[50:51], v[174:175], v[224:225]
	v_add_f64 v[82:83], v[10:11], v[0:1]
	v_add_f64 v[84:85], v[16:17], v[2:3]
	v_add_f64 v[86:87], v[10:11], -v[0:1]
	v_add_f64 v[88:89], v[16:17], -v[2:3]
	;; [unrolled: 1-line block ×4, first 2 shown]
	v_add_f64 v[90:91], v[74:75], v[18:19]
	v_add_f64 v[92:93], v[80:81], v[48:49]
	v_add_f64 v[0:1], v[0:1], -v[50:51]
	v_add_f64 v[10:11], v[50:51], -v[10:11]
	v_add_f64 v[94:95], v[74:75], -v[18:19]
	v_add_f64 v[96:97], v[80:81], -v[48:49]
	v_add_f64 v[18:19], v[18:19], -v[4:5]
	v_add_f64 v[98:99], v[48:49], -v[6:7]
	v_add_f64 v[74:75], v[4:5], -v[74:75]
	v_add_f64 v[80:81], v[6:7], -v[80:81]
	v_add_f64 v[82:83], v[50:51], v[82:83]
	v_add_f64 v[72:73], v[72:73], v[84:85]
	v_mul_f64 v[2:3], v[2:3], s[26:27]
	v_add_f64 v[4:5], v[90:91], v[4:5]
	v_add_f64 v[6:7], v[92:93], v[6:7]
	v_mul_f64 v[0:1], v[0:1], s[26:27]
	v_mul_f64 v[84:85], v[10:11], s[8:9]
	;; [unrolled: 1-line block ×7, first 2 shown]
	v_add_f64 v[48:49], v[200:201], v[82:83]
	v_add_f64 v[50:51], v[202:203], v[72:73]
	v_fma_f64 v[16:17], v[16:17], s[8:9], v[2:3]
	v_fma_f64 v[2:3], v[88:89], s[16:17], -v[2:3]
	v_fma_f64 v[10:11], v[10:11], s[8:9], v[0:1]
	v_fma_f64 v[84:85], v[86:87], s[14:15], -v[84:85]
	v_fma_f64 v[90:91], v[88:89], s[14:15], -v[90:91]
	;; [unrolled: 1-line block ×3, first 2 shown]
	v_fma_f64 v[86:87], v[74:75], s[10:11], v[92:93]
	v_fma_f64 v[88:89], v[80:81], s[10:11], v[94:95]
	v_fma_f64 v[18:19], v[18:19], s[24:25], -v[92:93]
	v_fma_f64 v[92:93], v[98:99], s[24:25], -v[94:95]
	v_fma_f64 v[74:75], v[74:75], s[18:19], v[96:97]
	v_fma_f64 v[80:81], v[80:81], s[18:19], v[102:103]
	v_add_f64 v[102:103], v[116:117], v[114:115]
	v_fma_f64 v[82:83], v[82:83], s[20:21], v[48:49]
	v_fma_f64 v[72:73], v[72:73], s[20:21], v[50:51]
	;; [unrolled: 1-line block ×8, first 2 shown]
	v_add_f64 v[10:11], v[10:11], v[82:83]
	v_add_f64 v[16:17], v[16:17], v[72:73]
	;; [unrolled: 1-line block ×7, first 2 shown]
	v_add_f64 v[82:83], v[16:17], -v[98:99]
	v_add_f64 v[84:85], v[94:95], -v[88:89]
	v_add_f64 v[72:73], v[6:7], v[0:1]
	v_add_f64 v[74:75], v[2:3], -v[4:5]
	v_add_f64 v[88:89], v[88:89], v[94:95]
	;; [unrolled: 2-line block ×4, first 2 shown]
	v_add_f64 v[0:1], v[126:127], v[106:107]
	v_add_f64 v[2:3], v[122:123], v[100:101]
	;; [unrolled: 1-line block ×5, first 2 shown]
	v_add_f64 v[90:91], v[90:91], -v[18:19]
	v_add_f64 v[4:5], v[126:127], -v[106:107]
	v_add_f64 v[6:7], v[122:123], -v[100:101]
	v_add_f64 v[18:19], v[120:121], -v[110:111]
	v_add_f64 v[100:101], v[118:119], -v[104:105]
	v_add_f64 v[104:105], v[112:113], v[108:109]
	v_add_f64 v[106:107], v[114:115], -v[116:117]
	v_add_f64 v[108:109], v[108:109], -v[112:113]
	v_add_f64 v[110:111], v[10:11], v[0:1]
	v_add_f64 v[112:113], v[16:17], v[2:3]
	v_add_f64 v[114:115], v[10:11], -v[0:1]
	v_add_f64 v[116:117], v[16:17], -v[2:3]
	;; [unrolled: 1-line block ×7, first 2 shown]
	v_add_f64 v[16:17], v[106:107], v[18:19]
	v_add_f64 v[120:121], v[108:109], v[100:101]
	v_add_f64 v[122:123], v[106:107], -v[18:19]
	v_add_f64 v[124:125], v[108:109], -v[100:101]
	;; [unrolled: 1-line block ×5, first 2 shown]
	v_add_f64 v[102:103], v[102:103], v[110:111]
	v_add_f64 v[104:105], v[104:105], v[112:113]
	v_mul_f64 v[0:1], v[0:1], s[26:27]
	v_mul_f64 v[110:111], v[10:11], s[8:9]
	v_mul_f64 v[2:3], v[2:3], s[26:27]
	v_mul_f64 v[112:113], v[118:119], s[8:9]
	v_add_f64 v[4:5], v[16:17], v[4:5]
	v_add_f64 v[6:7], v[120:121], v[6:7]
	v_mul_f64 v[120:121], v[122:123], s[22:23]
	v_mul_f64 v[122:123], v[124:125], s[22:23]
	;; [unrolled: 1-line block ×4, first 2 shown]
	v_add_f64 v[16:17], v[204:205], v[102:103]
	v_add_f64 v[18:19], v[206:207], v[104:105]
	v_fma_f64 v[10:11], v[10:11], s[8:9], v[0:1]
	v_fma_f64 v[110:111], v[114:115], s[14:15], -v[110:111]
	v_fma_f64 v[0:1], v[114:115], s[16:17], -v[0:1]
	v_fma_f64 v[118:119], v[118:119], s[8:9], v[2:3]
	v_fma_f64 v[112:113], v[116:117], s[14:15], -v[112:113]
	v_fma_f64 v[2:3], v[116:117], s[16:17], -v[2:3]
	v_fma_f64 v[114:115], v[106:107], s[10:11], v[120:121]
	v_fma_f64 v[116:117], v[108:109], s[10:11], v[122:123]
	v_fma_f64 v[120:121], v[126:127], s[24:25], -v[120:121]
	v_fma_f64 v[100:101], v[100:101], s[24:25], -v[122:123]
	v_fma_f64 v[106:107], v[106:107], s[18:19], v[124:125]
	v_fma_f64 v[108:109], v[108:109], s[18:19], v[128:129]
	;; [unrolled: 1-line block ×8, first 2 shown]
	v_add_f64 v[10:11], v[10:11], v[102:103]
	v_add_f64 v[122:123], v[118:119], v[104:105]
	;; [unrolled: 1-line block ×6, first 2 shown]
	v_fma_f64 v[112:113], v[6:7], s[2:3], v[100:101]
	v_fma_f64 v[6:7], v[6:7], s[2:3], v[108:109]
	v_add_f64 v[104:105], v[128:129], v[10:11]
	v_add_f64 v[120:121], v[10:11], -v[128:129]
	v_add_f64 v[10:11], v[170:171], v[132:133]
	v_add_f64 v[110:111], v[114:115], v[124:125]
	v_add_f64 v[114:115], v[124:125], -v[114:115]
	v_add_f64 v[102:103], v[2:3], -v[4:5]
	;; [unrolled: 1-line block ×3, first 2 shown]
	v_add_f64 v[100:101], v[6:7], v[0:1]
	v_add_f64 v[112:113], v[112:113], v[118:119]
	v_add_f64 v[116:117], v[0:1], -v[6:7]
	v_add_f64 v[118:119], v[4:5], v[2:3]
	v_add_f64 v[0:1], v[162:163], v[130:131]
	;; [unrolled: 1-line block ×4, first 2 shown]
	v_add_f64 v[106:107], v[122:123], -v[126:127]
	v_add_f64 v[122:123], v[126:127], v[122:123]
	v_add_f64 v[4:5], v[162:163], -v[130:131]
	v_add_f64 v[126:127], v[170:171], -v[132:133]
	;; [unrolled: 1-line block ×3, first 2 shown]
	v_add_f64 v[130:131], v[178:179], v[134:135]
	v_add_f64 v[132:133], v[176:177], v[138:139]
	v_add_f64 v[134:135], v[134:135], -v[178:179]
	v_add_f64 v[6:7], v[158:159], -v[146:147]
	scratch_load_b64 v[158:159], off, off offset:1320 ; 8-byte Folded Reload
	v_add_f64 v[138:139], v[10:11], v[0:1]
	v_add_f64 v[142:143], v[10:11], -v[0:1]
	v_add_f64 v[140:141], v[124:125], v[2:3]
	v_add_f64 v[144:145], v[124:125], -v[2:3]
	;; [unrolled: 2-line block ×3, first 2 shown]
	v_add_f64 v[2:3], v[2:3], -v[132:133]
	v_add_f64 v[10:11], v[130:131], -v[10:11]
	;; [unrolled: 1-line block ×3, first 2 shown]
	v_add_f64 v[146:147], v[134:135], v[126:127]
	v_add_f64 v[150:151], v[134:135], -v[126:127]
	v_add_f64 v[152:153], v[136:137], -v[128:129]
	;; [unrolled: 1-line block ×6, first 2 shown]
	v_add_f64 v[130:131], v[130:131], v[138:139]
	v_add_f64 v[132:133], v[132:133], v[140:141]
	;; [unrolled: 1-line block ×3, first 2 shown]
	v_mul_f64 v[0:1], v[0:1], s[26:27]
	v_mul_f64 v[2:3], v[2:3], s[26:27]
	;; [unrolled: 1-line block ×4, first 2 shown]
	v_add_f64 v[4:5], v[146:147], v[4:5]
	v_mul_f64 v[146:147], v[150:151], s[22:23]
	v_mul_f64 v[148:149], v[152:153], s[22:23]
	;; [unrolled: 1-line block ×4, first 2 shown]
	v_add_f64 v[172:173], v[208:209], v[130:131]
	v_add_f64 v[174:175], v[210:211], v[132:133]
	v_fma_f64 v[10:11], v[10:11], s[8:9], v[0:1]
	v_fma_f64 v[124:125], v[124:125], s[8:9], v[2:3]
	v_fma_f64 v[138:139], v[142:143], s[14:15], -v[138:139]
	v_fma_f64 v[0:1], v[142:143], s[16:17], -v[0:1]
	;; [unrolled: 1-line block ×3, first 2 shown]
	v_fma_f64 v[142:143], v[134:135], s[10:11], v[146:147]
	v_fma_f64 v[128:129], v[128:129], s[24:25], -v[148:149]
	v_fma_f64 v[2:3], v[144:145], s[16:17], -v[2:3]
	v_fma_f64 v[144:145], v[136:137], s[10:11], v[148:149]
	v_fma_f64 v[126:127], v[126:127], s[24:25], -v[146:147]
	v_fma_f64 v[134:135], v[134:135], s[18:19], v[150:151]
	v_fma_f64 v[136:137], v[136:137], s[18:19], v[152:153]
	s_waitcnt vmcnt(1)
	v_add_f64 v[152:153], v[156:157], v[198:199]
	v_add_f64 v[156:157], v[198:199], -v[156:157]
	v_fma_f64 v[130:131], v[130:131], s[20:21], v[172:173]
	v_fma_f64 v[132:133], v[132:133], s[20:21], v[174:175]
	;; [unrolled: 1-line block ×8, first 2 shown]
	v_add_f64 v[138:139], v[138:139], v[130:131]
	v_add_f64 v[10:11], v[10:11], v[130:131]
	;; [unrolled: 1-line block ×6, first 2 shown]
	v_add_f64 v[132:133], v[138:139], -v[150:151]
	v_add_f64 v[136:137], v[150:151], v[138:139]
	v_add_f64 v[130:131], v[146:147], -v[148:149]
	v_add_f64 v[146:147], v[148:149], v[146:147]
	s_clause 0x1
	scratch_load_b64 v[148:149], off, off offset:1336
	scratch_load_b64 v[150:151], off, off offset:1512
	v_add_f64 v[128:129], v[144:145], v[10:11]
	v_add_f64 v[124:125], v[6:7], v[0:1]
	v_add_f64 v[126:127], v[2:3], -v[4:5]
	v_add_f64 v[134:135], v[142:143], v[140:141]
	v_add_f64 v[138:139], v[140:141], -v[142:143]
	v_add_f64 v[140:141], v[0:1], -v[6:7]
	v_add_f64 v[142:143], v[4:5], v[2:3]
	v_add_f64 v[144:145], v[10:11], -v[144:145]
	v_add_f64 v[0:1], v[216:217], v[182:183]
	v_add_f64 v[2:3], v[77:78], v[180:181]
	v_add_f64 v[6:7], v[77:78], -v[180:181]
	v_add_f64 v[4:5], v[216:217], -v[182:183]
	s_waitcnt vmcnt(2)
	v_add_f64 v[154:155], v[158:159], v[190:191]
	v_add_f64 v[158:159], v[190:191], -v[158:159]
	s_waitcnt vmcnt(1)
	v_add_f64 v[10:11], v[148:149], v[186:187]
	s_waitcnt vmcnt(0)
	v_add_f64 v[77:78], v[150:151], v[184:185]
	v_add_f64 v[148:149], v[148:149], -v[186:187]
	v_add_f64 v[150:151], v[150:151], -v[184:185]
	s_delay_alu instid0(VALU_DEP_4) | instskip(NEXT) | instid1(VALU_DEP_4)
	v_add_f64 v[160:161], v[10:11], v[0:1]
	v_add_f64 v[162:163], v[77:78], v[2:3]
	v_add_f64 v[164:165], v[10:11], -v[0:1]
	v_add_f64 v[166:167], v[77:78], -v[2:3]
	;; [unrolled: 1-line block ×6, first 2 shown]
	v_add_f64 v[168:169], v[156:157], v[148:149]
	v_add_f64 v[170:171], v[158:159], v[150:151]
	v_add_f64 v[176:177], v[156:157], -v[148:149]
	v_add_f64 v[178:179], v[158:159], -v[150:151]
	;; [unrolled: 1-line block ×6, first 2 shown]
	v_add_f64 v[152:153], v[152:153], v[160:161]
	v_add_f64 v[154:155], v[154:155], v[162:163]
	v_mul_f64 v[0:1], v[0:1], s[26:27]
	v_mul_f64 v[2:3], v[2:3], s[26:27]
	v_add_f64 v[160:161], v[168:169], v[4:5]
	v_add_f64 v[162:163], v[170:171], v[6:7]
	v_mul_f64 v[168:169], v[10:11], s[8:9]
	v_mul_f64 v[170:171], v[77:78], s[8:9]
	;; [unrolled: 1-line block ×6, first 2 shown]
	v_add_f64 v[4:5], v[220:221], v[152:153]
	v_add_f64 v[6:7], v[222:223], v[154:155]
	v_fma_f64 v[10:11], v[10:11], s[8:9], v[0:1]
	v_fma_f64 v[77:78], v[77:78], s[8:9], v[2:3]
	v_fma_f64 v[0:1], v[164:165], s[16:17], -v[0:1]
	v_fma_f64 v[2:3], v[166:167], s[16:17], -v[2:3]
	;; [unrolled: 1-line block ×4, first 2 shown]
	v_fma_f64 v[164:165], v[156:157], s[10:11], v[176:177]
	v_fma_f64 v[166:167], v[158:159], s[10:11], v[178:179]
	v_fma_f64 v[148:149], v[148:149], s[24:25], -v[176:177]
	v_fma_f64 v[150:151], v[150:151], s[24:25], -v[178:179]
	v_fma_f64 v[156:157], v[156:157], s[18:19], v[180:181]
	v_fma_f64 v[158:159], v[158:159], s[18:19], v[182:183]
	;; [unrolled: 1-line block ×10, first 2 shown]
	v_add_f64 v[10:11], v[10:11], v[152:153]
	v_add_f64 v[77:78], v[77:78], v[154:155]
	;; [unrolled: 1-line block ×7, first 2 shown]
	v_add_f64 v[154:155], v[77:78], -v[176:177]
	v_add_f64 v[156:157], v[168:169], -v[166:167]
	v_add_f64 v[158:159], v[164:165], v[170:171]
	v_add_f64 v[148:149], v[182:183], v[0:1]
	v_add_f64 v[150:151], v[2:3], -v[180:181]
	v_add_f64 v[160:161], v[166:167], v[168:169]
	v_add_f64 v[162:163], v[170:171], -v[164:165]
	v_add_f64 v[164:165], v[0:1], -v[182:183]
	v_add_f64 v[166:167], v[180:181], v[2:3]
	v_add_f64 v[168:169], v[10:11], -v[178:179]
	v_add_f64 v[170:171], v[176:177], v[77:78]
	s_clause 0xb
	scratch_load_b64 v[10:11], off, off offset:1068
	scratch_load_b64 v[176:177], off, off offset:1272
	;; [unrolled: 1-line block ×12, first 2 shown]
	s_waitcnt vmcnt(10)
	v_add_f64 v[0:1], v[10:11], v[176:177]
	s_waitcnt vmcnt(8)
	v_add_f64 v[2:3], v[77:78], v[178:179]
	v_add_f64 v[10:11], v[10:11], -v[176:177]
	v_add_f64 v[77:78], v[77:78], -v[178:179]
	s_waitcnt vmcnt(6)
	v_add_f64 v[176:177], v[180:181], v[184:185]
	s_waitcnt vmcnt(4)
	v_add_f64 v[178:179], v[182:183], v[186:187]
	v_add_f64 v[180:181], v[180:181], -v[184:185]
	v_add_f64 v[182:183], v[182:183], -v[186:187]
	;; [unrolled: 6-line block ×3, first 2 shown]
	v_add_f64 v[198:199], v[176:177], v[0:1]
	v_add_f64 v[200:201], v[178:179], v[2:3]
	v_add_f64 v[202:203], v[176:177], -v[0:1]
	v_add_f64 v[204:205], v[178:179], -v[2:3]
	;; [unrolled: 1-line block ×4, first 2 shown]
	v_add_f64 v[0:1], v[188:189], v[180:181]
	v_add_f64 v[2:3], v[190:191], v[182:183]
	v_add_f64 v[210:211], v[188:189], -v[180:181]
	v_add_f64 v[212:213], v[190:191], -v[182:183]
	;; [unrolled: 1-line block ×8, first 2 shown]
	v_add_f64 v[184:185], v[184:185], v[198:199]
	v_add_f64 v[186:187], v[186:187], v[200:201]
	v_mul_f64 v[198:199], v[206:207], s[26:27]
	v_mul_f64 v[200:201], v[208:209], s[26:27]
	v_add_f64 v[10:11], v[0:1], v[10:11]
	v_add_f64 v[77:78], v[2:3], v[77:78]
	scratch_load_b128 v[0:3], off, off offset:1084 ; 16-byte Folded Reload
	v_mul_f64 v[210:211], v[210:211], s[22:23]
	v_mul_f64 v[212:213], v[212:213], s[22:23]
	s_waitcnt vmcnt(0)
	s_waitcnt_vscnt null, 0x0
	v_mul_f64 v[214:215], v[180:181], s[4:5]
	v_mul_f64 v[216:217], v[182:183], s[4:5]
	;; [unrolled: 1-line block ×4, first 2 shown]
	s_barrier
	buffer_gl0_inv
	ds_store_b128 v196, v[12:15]
	ds_store_b128 v196, v[20:23] offset:784
	ds_store_b128 v196, v[60:63] offset:1568
	;; [unrolled: 1-line block ×13, first 2 shown]
	v_fma_f64 v[176:177], v[176:177], s[8:9], v[198:199]
	v_fma_f64 v[178:179], v[178:179], s[8:9], v[200:201]
	v_fma_f64 v[198:199], v[202:203], s[16:17], -v[198:199]
	v_fma_f64 v[200:201], v[204:205], s[16:17], -v[200:201]
	;; [unrolled: 1-line block ×6, first 2 shown]
	v_fma_f64 v[202:203], v[188:189], s[10:11], v[210:211]
	v_fma_f64 v[204:205], v[190:191], s[10:11], v[212:213]
	;; [unrolled: 1-line block ×10, first 2 shown]
	v_add_f64 v[2:3], v[2:3], v[186:187]
	v_add_f64 v[0:1], v[0:1], v[184:185]
	s_delay_alu instid0(VALU_DEP_2) | instskip(NEXT) | instid1(VALU_DEP_2)
	v_fma_f64 v[186:187], v[186:187], s[20:21], v[2:3]
	v_fma_f64 v[184:185], v[184:185], s[20:21], v[0:1]
	s_delay_alu instid0(VALU_DEP_2) | instskip(NEXT) | instid1(VALU_DEP_2)
	v_add_f64 v[200:201], v[200:201], v[186:187]
	v_add_f64 v[210:211], v[176:177], v[184:185]
	;; [unrolled: 1-line block ×6, first 2 shown]
	v_add_f64 v[182:183], v[200:201], -v[10:11]
	v_add_f64 v[200:201], v[10:11], v[200:201]
	scratch_load_b32 v10, off, off offset:796 ; 4-byte Folded Reload
	v_add_f64 v[176:177], v[202:203], v[210:211]
	v_add_f64 v[178:179], v[212:213], -v[214:215]
	v_add_f64 v[180:181], v[77:78], v[198:199]
	v_add_f64 v[184:185], v[206:207], -v[216:217]
	v_add_f64 v[186:187], v[204:205], v[208:209]
	v_add_f64 v[188:189], v[216:217], v[206:207]
	v_add_f64 v[190:191], v[208:209], -v[204:205]
	v_add_f64 v[198:199], v[198:199], -v[77:78]
	;; [unrolled: 1-line block ×3, first 2 shown]
	v_add_f64 v[204:205], v[214:215], v[212:213]
	s_waitcnt vmcnt(0)
	v_lshlrev_b32_e32 v10, 4, v10
	scratch_store_b32 off, v10, off offset:2728 ; 4-byte Folded Spill
	ds_store_b128 v10, v[48:51] offset:10976
	ds_store_b128 v10, v[80:83] offset:11760
	;; [unrolled: 1-line block ×7, first 2 shown]
	scratch_load_b32 v10, off, off offset:812 ; 4-byte Folded Reload
	s_waitcnt vmcnt(0)
	v_lshlrev_b32_e32 v10, 4, v10
	scratch_store_b32 off, v10, off offset:2492 ; 4-byte Folded Spill
	ds_store_b128 v10, v[16:19] offset:16464
	ds_store_b128 v10, v[104:107] offset:17248
	;; [unrolled: 1-line block ×7, first 2 shown]
	scratch_load_b32 v10, off, off offset:828 ; 4-byte Folded Reload
	s_waitcnt vmcnt(0)
	v_lshlrev_b32_e32 v10, 4, v10
	scratch_store_b32 off, v10, off offset:1824 ; 4-byte Folded Spill
	ds_store_b128 v10, v[172:175] offset:21952
	ds_store_b128 v10, v[128:131] offset:22736
	;; [unrolled: 1-line block ×7, first 2 shown]
	v_and_b32_e32 v10, 0xffff, v76
	s_delay_alu instid0(VALU_DEP_1)
	v_lshlrev_b32_e32 v10, 4, v10
	scratch_store_b32 off, v10, off offset:1248 ; 4-byte Folded Spill
	ds_store_b128 v10, v[4:7] offset:27440
	ds_store_b128 v10, v[152:155] offset:28224
	;; [unrolled: 1-line block ×7, first 2 shown]
	v_and_b32_e32 v4, 0xffff, v79
	s_delay_alu instid0(VALU_DEP_1)
	v_lshlrev_b32_e32 v4, 4, v4
	scratch_store_b32 off, v4, off offset:796 ; 4-byte Folded Spill
	ds_store_b128 v4, v[0:3] offset:32928
	ds_store_b128 v4, v[176:179] offset:33712
	;; [unrolled: 1-line block ×7, first 2 shown]
	s_waitcnt lgkmcnt(0)
	s_waitcnt_vscnt null, 0x0
	s_barrier
	buffer_gl0_inv
	ds_load_b128 v[208:211], v196
	ds_load_b128 v[192:195], v196 offset:5488
	ds_load_b128 v[188:191], v196 offset:10976
	;; [unrolled: 1-line block ×42, first 2 shown]
	s_waitcnt lgkmcnt(0)
	scratch_store_b128 off, v[0:3], off offset:2768 ; 16-byte Folded Spill
	v_add_co_u32 v0, vcc_lo, 0x1500, v8
	v_add_co_ci_u32_e32 v1, vcc_lo, 0, v9, vcc_lo
	v_add_co_u32 v2, vcc_lo, 0x1000, v8
	v_add_co_ci_u32_e32 v3, vcc_lo, 0, v9, vcc_lo
	ds_load_b128 v[44:47], v196 offset:10192
	ds_load_b128 v[40:43], v196 offset:15680
	;; [unrolled: 1-line block ×6, first 2 shown]
	global_load_b128 v[14:17], v[2:3], off offset:1280
	s_waitcnt vmcnt(0)
	scratch_store_b128 off, v[14:17], off offset:812 ; 16-byte Folded Spill
	s_clause 0x2
	global_load_b128 v[4:7], v[0:1], off offset:48
	global_load_b128 v[10:13], v[0:1], off offset:32
	;; [unrolled: 1-line block ×3, first 2 shown]
	v_mul_f64 v[0:1], v[194:195], v[16:17]
	s_delay_alu instid0(VALU_DEP_1) | instskip(SKIP_1) | instid1(VALU_DEP_1)
	v_fma_f64 v[34:35], v[192:193], v[14:15], -v[0:1]
	v_mul_f64 v[0:1], v[192:193], v[16:17]
	v_fma_f64 v[32:33], v[194:195], v[14:15], v[0:1]
	s_waitcnt vmcnt(2)
	scratch_store_b128 off, v[4:7], off offset:860 ; 16-byte Folded Spill
	s_waitcnt vmcnt(1)
	scratch_store_b128 off, v[10:13], off offset:844 ; 16-byte Folded Spill
	s_waitcnt vmcnt(0)
	v_mul_f64 v[0:1], v[190:191], v[66:67]
	scratch_store_b128 off, v[64:67], off offset:828 ; 16-byte Folded Spill
	v_fma_f64 v[16:17], v[188:189], v[64:65], -v[0:1]
	v_mul_f64 v[0:1], v[188:189], v[66:67]
	scratch_load_b32 v66, off, off offset:1020 ; 4-byte Folded Reload
	v_fma_f64 v[14:15], v[190:191], v[64:65], v[0:1]
	v_mul_f64 v[0:1], v[186:187], v[12:13]
	s_delay_alu instid0(VALU_DEP_1) | instskip(SKIP_1) | instid1(VALU_DEP_1)
	v_fma_f64 v[64:65], v[184:185], v[10:11], -v[0:1]
	v_mul_f64 v[0:1], v[184:185], v[12:13]
	v_fma_f64 v[18:19], v[186:187], v[10:11], v[0:1]
	v_mul_f64 v[0:1], v[182:183], v[6:7]
	s_delay_alu instid0(VALU_DEP_1) | instskip(SKIP_1) | instid1(VALU_DEP_1)
	v_fma_f64 v[12:13], v[180:181], v[4:5], -v[0:1]
	v_mul_f64 v[0:1], v[180:181], v[6:7]
	v_fma_f64 v[10:11], v[182:183], v[4:5], v[0:1]
	global_load_b128 v[2:5], v[2:3], off offset:1344
	v_add_co_u32 v0, vcc_lo, 0x1540, v8
	v_add_co_ci_u32_e32 v1, vcc_lo, 0, v9, vcc_lo
	global_load_b128 v[180:183], v[0:1], off offset:16
	s_waitcnt vmcnt(1)
	v_mul_f64 v[0:1], v[178:179], v[4:5]
	scratch_store_b128 off, v[2:5], off offset:876 ; 16-byte Folded Spill
	s_waitcnt vmcnt(0)
	scratch_store_b128 off, v[180:183], off offset:892 ; 16-byte Folded Spill
	v_fma_f64 v[8:9], v[176:177], v[2:3], -v[0:1]
	v_mul_f64 v[0:1], v[176:177], v[4:5]
	s_delay_alu instid0(VALU_DEP_1) | instskip(SKIP_1) | instid1(VALU_DEP_1)
	v_fma_f64 v[6:7], v[178:179], v[2:3], v[0:1]
	v_mul_f64 v[0:1], v[174:175], v[182:183]
	v_fma_f64 v[4:5], v[172:173], v[180:181], -v[0:1]
	v_mul_f64 v[0:1], v[172:173], v[182:183]
	s_delay_alu instid0(VALU_DEP_1) | instskip(SKIP_2) | instid1(SALU_CYCLE_1)
	v_fma_f64 v[2:3], v[174:175], v[180:181], v[0:1]
	v_mad_u64_u32 v[0:1], null, 0x60, v66, s[6:7]
	s_mul_hi_u32 s6, s0, 0xffff8270
	s_sub_i32 s6, s6, s0
	s_delay_alu instid0(VALU_DEP_1) | instskip(NEXT) | instid1(VALU_DEP_2)
	v_add_co_u32 v66, vcc_lo, 0x1500, v0
	v_add_co_ci_u32_e32 v67, vcc_lo, 0, v1, vcc_lo
	v_add_co_u32 v172, vcc_lo, 0x1000, v0
	v_add_co_ci_u32_e32 v173, vcc_lo, 0, v1, vcc_lo
	s_clause 0x3
	global_load_b128 v[186:189], v[172:173], off offset:1280
	global_load_b128 v[174:177], v[66:67], off offset:48
	;; [unrolled: 1-line block ×4, first 2 shown]
	s_waitcnt vmcnt(3)
	v_mul_f64 v[66:67], v[170:171], v[188:189]
	s_waitcnt vmcnt(2)
	s_clause 0x1
	scratch_store_b128 off, v[174:177], off offset:1068
	scratch_store_b128 off, v[186:189], off offset:1020
	s_waitcnt vmcnt(0)
	s_clause 0x1
	scratch_store_b128 off, v[182:185], off offset:1036
	scratch_store_b128 off, v[178:181], off offset:1052
	v_fma_f64 v[254:255], v[168:169], v[186:187], -v[66:67]
	v_mul_f64 v[66:67], v[168:169], v[188:189]
	s_delay_alu instid0(VALU_DEP_1) | instskip(SKIP_1) | instid1(VALU_DEP_1)
	v_fma_f64 v[168:169], v[170:171], v[186:187], v[66:67]
	v_mul_f64 v[66:67], v[166:167], v[184:185]
	v_fma_f64 v[252:253], v[164:165], v[182:183], -v[66:67]
	v_mul_f64 v[66:67], v[164:165], v[184:185]
	s_delay_alu instid0(VALU_DEP_1) | instskip(SKIP_1) | instid1(VALU_DEP_1)
	v_fma_f64 v[164:165], v[166:167], v[182:183], v[66:67]
	v_mul_f64 v[66:67], v[162:163], v[180:181]
	;; [unrolled: 5-line block ×3, first 2 shown]
	v_fma_f64 v[250:251], v[156:157], v[174:175], -v[66:67]
	v_mul_f64 v[66:67], v[156:157], v[176:177]
	s_delay_alu instid0(VALU_DEP_1)
	v_fma_f64 v[158:159], v[158:159], v[174:175], v[66:67]
	global_load_b128 v[174:177], v[172:173], off offset:1344
	v_add_co_u32 v66, vcc_lo, 0x1540, v0
	v_add_co_ci_u32_e32 v67, vcc_lo, 0, v1, vcc_lo
	global_load_b128 v[170:173], v[66:67], off offset:16
	s_waitcnt vmcnt(1)
	v_mul_f64 v[66:67], v[154:155], v[176:177]
	scratch_store_b128 off, v[174:177], off offset:1084 ; 16-byte Folded Spill
	s_waitcnt vmcnt(0)
	scratch_store_b128 off, v[170:173], off offset:1100 ; 16-byte Folded Spill
	v_fma_f64 v[156:157], v[152:153], v[174:175], -v[66:67]
	v_mul_f64 v[66:67], v[152:153], v[176:177]
	s_delay_alu instid0(VALU_DEP_1) | instskip(SKIP_1) | instid1(VALU_DEP_1)
	v_fma_f64 v[154:155], v[154:155], v[174:175], v[66:67]
	v_mul_f64 v[66:67], v[150:151], v[172:173]
	v_fma_f64 v[152:153], v[148:149], v[170:171], -v[66:67]
	v_mul_f64 v[66:67], v[148:149], v[172:173]
	v_add_co_u32 v148, vcc_lo, 0x2760, v0
	v_add_co_ci_u32_e32 v149, vcc_lo, 0, v1, vcc_lo
	s_delay_alu instid0(VALU_DEP_3)
	v_fma_f64 v[66:67], v[150:151], v[170:171], v[66:67]
	v_add_co_u32 v150, vcc_lo, 0x2000, v0
	v_add_co_ci_u32_e32 v151, vcc_lo, 0, v1, vcc_lo
	s_clause 0x3
	global_load_b128 v[182:185], v[150:151], off offset:1888
	global_load_b128 v[170:173], v[148:149], off offset:48
	;; [unrolled: 1-line block ×4, first 2 shown]
	s_waitcnt vmcnt(3)
	v_mul_f64 v[148:149], v[146:147], v[184:185]
	scratch_store_b128 off, v[182:185], off offset:1256 ; 16-byte Folded Spill
	s_waitcnt vmcnt(1)
	s_clause 0x1
	scratch_store_b128 off, v[174:177], off offset:1288
	scratch_store_b128 off, v[170:173], off offset:1304
	s_waitcnt vmcnt(0)
	scratch_store_b128 off, v[178:181], off offset:1272 ; 16-byte Folded Spill
	v_fma_f64 v[148:149], v[144:145], v[182:183], -v[148:149]
	v_mul_f64 v[144:145], v[144:145], v[184:185]
	s_delay_alu instid0(VALU_DEP_1) | instskip(SKIP_1) | instid1(VALU_DEP_1)
	v_fma_f64 v[218:219], v[146:147], v[182:183], v[144:145]
	v_mul_f64 v[144:145], v[142:143], v[180:181]
	v_fma_f64 v[144:145], v[140:141], v[178:179], -v[144:145]
	v_mul_f64 v[140:141], v[140:141], v[180:181]
	s_delay_alu instid0(VALU_DEP_1) | instskip(SKIP_1) | instid1(VALU_DEP_1)
	v_fma_f64 v[140:141], v[142:143], v[178:179], v[140:141]
	v_mul_f64 v[142:143], v[138:139], v[176:177]
	;; [unrolled: 5-line block ×3, first 2 shown]
	v_fma_f64 v[136:137], v[132:133], v[170:171], -v[136:137]
	v_mul_f64 v[132:133], v[132:133], v[172:173]
	s_delay_alu instid0(VALU_DEP_1)
	v_fma_f64 v[134:135], v[134:135], v[170:171], v[132:133]
	v_add_co_u32 v132, vcc_lo, 0x27a0, v0
	v_add_co_ci_u32_e32 v133, vcc_lo, 0, v1, vcc_lo
	s_clause 0x1
	global_load_b128 v[174:177], v[150:151], off offset:1952
	global_load_b128 v[170:173], v[132:133], off offset:16
	s_waitcnt vmcnt(1)
	v_mul_f64 v[132:133], v[130:131], v[176:177]
	scratch_store_b128 off, v[174:177], off offset:1320 ; 16-byte Folded Spill
	s_waitcnt vmcnt(0)
	scratch_store_b128 off, v[170:173], off offset:1336 ; 16-byte Folded Spill
	v_fma_f64 v[132:133], v[128:129], v[174:175], -v[132:133]
	v_mul_f64 v[128:129], v[128:129], v[176:177]
	s_delay_alu instid0(VALU_DEP_1) | instskip(SKIP_1) | instid1(VALU_DEP_1)
	v_fma_f64 v[130:131], v[130:131], v[174:175], v[128:129]
	v_mul_f64 v[128:129], v[126:127], v[172:173]
	v_fma_f64 v[128:129], v[124:125], v[170:171], -v[128:129]
	v_mul_f64 v[124:125], v[124:125], v[172:173]
	s_delay_alu instid0(VALU_DEP_1)
	v_fma_f64 v[124:125], v[126:127], v[170:171], v[124:125]
	v_add_co_u32 v126, vcc_lo, 0x39c0, v0
	v_add_co_ci_u32_e32 v127, vcc_lo, 0, v1, vcc_lo
	v_add_co_u32 v146, vcc_lo, 0x3000, v0
	v_add_co_ci_u32_e32 v147, vcc_lo, 0, v1, vcc_lo
	s_clause 0x3
	global_load_b128 v[182:185], v[146:147], off offset:2496
	global_load_b128 v[170:173], v[126:127], off offset:48
	;; [unrolled: 1-line block ×4, first 2 shown]
	s_waitcnt vmcnt(3)
	v_mul_f64 v[126:127], v[122:123], v[184:185]
	scratch_store_b128 off, v[182:185], off offset:1512 ; 16-byte Folded Spill
	s_waitcnt vmcnt(1)
	scratch_store_b128 off, v[174:177], off offset:1548 ; 16-byte Folded Spill
	s_waitcnt vmcnt(0)
	s_clause 0x1
	scratch_store_b128 off, v[178:181], off offset:1532
	scratch_store_b128 off, v[170:173], off offset:1564
	v_fma_f64 v[216:217], v[120:121], v[182:183], -v[126:127]
	v_mul_f64 v[120:121], v[120:121], v[184:185]
	s_delay_alu instid0(VALU_DEP_1) | instskip(SKIP_1) | instid1(VALU_DEP_1)
	v_fma_f64 v[120:121], v[122:123], v[182:183], v[120:121]
	v_mul_f64 v[122:123], v[118:119], v[180:181]
	v_fma_f64 v[122:123], v[116:117], v[178:179], -v[122:123]
	v_mul_f64 v[116:117], v[116:117], v[180:181]
	s_delay_alu instid0(VALU_DEP_1) | instskip(SKIP_1) | instid1(VALU_DEP_1)
	v_fma_f64 v[118:119], v[118:119], v[178:179], v[116:117]
	v_mul_f64 v[116:117], v[114:115], v[176:177]
	;; [unrolled: 5-line block ×3, first 2 shown]
	v_fma_f64 v[114:115], v[108:109], v[170:171], -v[114:115]
	v_mul_f64 v[108:109], v[108:109], v[172:173]
	s_delay_alu instid0(VALU_DEP_1)
	v_fma_f64 v[108:109], v[110:111], v[170:171], v[108:109]
	v_add_co_u32 v110, vcc_lo, 0x3a00, v0
	v_add_co_ci_u32_e32 v111, vcc_lo, 0, v1, vcc_lo
	s_clause 0x1
	global_load_b128 v[174:177], v[146:147], off offset:2560
	global_load_b128 v[170:173], v[110:111], off offset:16
	s_waitcnt vmcnt(1)
	v_mul_f64 v[110:111], v[106:107], v[176:177]
	scratch_store_b128 off, v[174:177], off offset:1628 ; 16-byte Folded Spill
	s_waitcnt vmcnt(0)
	scratch_store_b128 off, v[170:173], off offset:1660 ; 16-byte Folded Spill
	v_fma_f64 v[110:111], v[104:105], v[174:175], -v[110:111]
	v_mul_f64 v[104:105], v[104:105], v[176:177]
	s_delay_alu instid0(VALU_DEP_1) | instskip(SKIP_1) | instid1(VALU_DEP_1)
	v_fma_f64 v[104:105], v[106:107], v[174:175], v[104:105]
	v_mul_f64 v[106:107], v[102:103], v[172:173]
	v_fma_f64 v[106:107], v[100:101], v[170:171], -v[106:107]
	v_mul_f64 v[100:101], v[100:101], v[172:173]
	s_delay_alu instid0(VALU_DEP_1)
	v_fma_f64 v[100:101], v[102:103], v[170:171], v[100:101]
	v_add_co_u32 v102, vcc_lo, 0x4c20, v0
	v_add_co_ci_u32_e32 v103, vcc_lo, 0, v1, vcc_lo
	v_add_co_u32 v126, vcc_lo, 0x4000, v0
	v_add_co_ci_u32_e32 v127, vcc_lo, 0, v1, vcc_lo
	s_clause 0x3
	global_load_b128 v[186:189], v[126:127], off offset:3104
	global_load_b128 v[170:173], v[102:103], off offset:48
	global_load_b128 v[182:185], v[102:103], off offset:32
	global_load_b128 v[178:181], v[102:103], off offset:16
	s_waitcnt vmcnt(3)
	v_mul_f64 v[102:103], v[98:99], v[188:189]
	scratch_store_b128 off, v[186:189], off offset:1808 ; 16-byte Folded Spill
	v_fma_f64 v[176:177], v[96:97], v[186:187], -v[102:103]
	v_mul_f64 v[96:97], v[96:97], v[188:189]
	v_add_f64 v[102:103], v[108:109], -v[112:113]
	s_delay_alu instid0(VALU_DEP_2) | instskip(SKIP_3) | instid1(VALU_DEP_2)
	v_fma_f64 v[174:175], v[98:99], v[186:187], v[96:97]
	s_waitcnt vmcnt(0)
	v_dual_mov_b32 v189, v181 :: v_dual_mov_b32 v188, v180
	v_dual_mov_b32 v187, v179 :: v_dual_mov_b32 v186, v178
	v_mul_f64 v[96:97], v[94:95], v[188:189]
	scratch_store_b128 off, v[186:189], off offset:1828 ; 16-byte Folded Spill
	v_fma_f64 v[180:181], v[92:93], v[186:187], -v[96:97]
	v_mul_f64 v[92:93], v[92:93], v[188:189]
	s_delay_alu instid0(VALU_DEP_1) | instskip(SKIP_3) | instid1(VALU_DEP_2)
	v_fma_f64 v[178:179], v[94:95], v[186:187], v[92:93]
	v_mov_b32_e32 v94, v182
	v_dual_mov_b32 v96, v184 :: v_dual_mov_b32 v97, v185
	v_mov_b32_e32 v95, v183
	v_mul_f64 v[92:93], v[90:91], v[96:97]
	s_delay_alu instid0(VALU_DEP_1) | instskip(SKIP_1) | instid1(VALU_DEP_1)
	v_fma_f64 v[184:185], v[88:89], v[94:95], -v[92:93]
	v_mul_f64 v[88:89], v[88:89], v[96:97]
	v_fma_f64 v[182:183], v[90:91], v[94:95], v[88:89]
	v_mov_b32_e32 v90, v170
	v_dual_mov_b32 v92, v172 :: v_dual_mov_b32 v93, v173
	v_mov_b32_e32 v91, v171
	scratch_store_b128 off, v[94:97], off offset:1860 ; 16-byte Folded Spill
	v_mul_f64 v[88:89], v[86:87], v[92:93]
	scratch_store_b128 off, v[90:93], off offset:1876 ; 16-byte Folded Spill
	v_fma_f64 v[172:173], v[84:85], v[90:91], -v[88:89]
	v_mul_f64 v[84:85], v[84:85], v[92:93]
	s_delay_alu instid0(VALU_DEP_1)
	v_fma_f64 v[170:171], v[86:87], v[90:91], v[84:85]
	v_add_co_u32 v84, vcc_lo, 0x4c60, v0
	v_add_co_ci_u32_e32 v85, vcc_lo, 0, v1, vcc_lo
	s_clause 0x1
	global_load_b128 v[90:93], v[126:127], off offset:3168
	global_load_b128 v[86:89], v[84:85], off offset:16
	s_waitcnt vmcnt(1)
	v_mul_f64 v[84:85], v[82:83], v[92:93]
	scratch_store_b128 off, v[90:93], off offset:1956 ; 16-byte Folded Spill
	s_waitcnt vmcnt(0)
	scratch_store_b128 off, v[86:89], off offset:1988 ; 16-byte Folded Spill
	v_fma_f64 v[162:163], v[80:81], v[90:91], -v[84:85]
	v_mul_f64 v[80:81], v[80:81], v[92:93]
	s_delay_alu instid0(VALU_DEP_1) | instskip(SKIP_1) | instid1(VALU_DEP_1)
	v_fma_f64 v[150:151], v[82:83], v[90:91], v[80:81]
	v_mul_f64 v[80:81], v[78:79], v[88:89]
	v_fma_f64 v[126:127], v[76:77], v[86:87], -v[80:81]
	v_mul_f64 v[76:77], v[76:77], v[88:89]
	s_delay_alu instid0(VALU_DEP_1)
	v_fma_f64 v[146:147], v[78:79], v[86:87], v[76:77]
	v_add_co_u32 v76, vcc_lo, 0x5e80, v0
	v_add_co_ci_u32_e32 v77, vcc_lo, 0, v1, vcc_lo
	v_add_co_u32 v78, vcc_lo, 0x5000, v0
	v_add_co_ci_u32_e32 v79, vcc_lo, 0, v1, vcc_lo
	s_clause 0x3
	global_load_b128 v[92:95], v[78:79], off offset:3712
	global_load_b128 v[80:83], v[76:77], off offset:48
	;; [unrolled: 1-line block ×4, first 2 shown]
	s_waitcnt vmcnt(3)
	v_mul_f64 v[76:77], v[74:75], v[94:95]
	scratch_store_b128 off, v[92:95], off offset:2100 ; 16-byte Folded Spill
	s_waitcnt vmcnt(1)
	scratch_store_b128 off, v[84:87], off offset:2164 ; 16-byte Folded Spill
	s_waitcnt vmcnt(0)
	scratch_store_b128 off, v[88:91], off offset:2148 ; 16-byte Folded Spill
	v_fma_f64 v[76:77], v[72:73], v[92:93], -v[76:77]
	v_mul_f64 v[72:73], v[72:73], v[94:95]
	s_delay_alu instid0(VALU_DEP_1) | instskip(SKIP_1) | instid1(VALU_DEP_1)
	v_fma_f64 v[198:199], v[74:75], v[92:93], v[72:73]
	v_mul_f64 v[72:73], v[70:71], v[90:91]
	v_fma_f64 v[72:73], v[68:69], v[88:89], -v[72:73]
	v_mul_f64 v[68:69], v[68:69], v[90:91]
	scratch_store_b64 off, v[72:73], off offset:2896 ; 8-byte Folded Spill
	v_fma_f64 v[220:221], v[70:71], v[88:89], v[68:69]
	v_mul_f64 v[68:69], v[62:63], v[86:87]
	s_delay_alu instid0(VALU_DEP_1)
	v_fma_f64 v[68:69], v[60:61], v[84:85], -v[68:69]
	v_mul_f64 v[60:61], v[60:61], v[86:87]
	s_clause 0x1
	scratch_store_b64 off, v[76:77], off offset:2888
	scratch_store_b64 off, v[68:69], off offset:2872
	v_fma_f64 v[60:61], v[62:63], v[84:85], v[60:61]
	s_clause 0x1
	scratch_store_b64 off, v[60:61], off offset:2880
	scratch_store_b128 off, v[80:83], off offset:2180
	v_mul_f64 v[60:61], v[58:59], v[82:83]
	s_delay_alu instid0(VALU_DEP_1) | instskip(SKIP_1) | instid1(VALU_DEP_1)
	v_fma_f64 v[240:241], v[56:57], v[80:81], -v[60:61]
	v_mul_f64 v[56:57], v[56:57], v[82:83]
	v_fma_f64 v[194:195], v[58:59], v[80:81], v[56:57]
	v_add_co_u32 v56, vcc_lo, 0x5ec0, v0
	v_add_co_ci_u32_e32 v57, vcc_lo, 0, v1, vcc_lo
	s_clause 0x1
	global_load_b128 v[68:71], v[78:79], off offset:3776
	global_load_b128 v[58:61], v[56:57], off offset:16
	s_waitcnt vmcnt(1)
	v_mul_f64 v[56:57], v[54:55], v[70:71]
	scratch_store_b128 off, v[68:71], off offset:2196 ; 16-byte Folded Spill
	s_waitcnt vmcnt(0)
	scratch_store_b128 off, v[58:61], off offset:2212 ; 16-byte Folded Spill
	v_fma_f64 v[192:193], v[52:53], v[68:69], -v[56:57]
	v_mul_f64 v[52:53], v[52:53], v[70:71]
	s_delay_alu instid0(VALU_DEP_1) | instskip(SKIP_1) | instid1(VALU_DEP_1)
	v_fma_f64 v[190:191], v[54:55], v[68:69], v[52:53]
	v_mul_f64 v[52:53], v[50:51], v[60:61]
	v_fma_f64 v[188:189], v[48:49], v[58:59], -v[52:53]
	v_mul_f64 v[48:49], v[48:49], v[60:61]
	s_delay_alu instid0(VALU_DEP_1)
	v_fma_f64 v[186:187], v[50:51], v[58:59], v[48:49]
	v_add_co_u32 v48, vcc_lo, 0x70e0, v0
	v_add_co_ci_u32_e32 v49, vcc_lo, 0, v1, vcc_lo
	v_add_co_u32 v50, vcc_lo, 0x7000, v0
	v_add_co_ci_u32_e32 v51, vcc_lo, 0, v1, vcc_lo
	s_clause 0x3
	global_load_b128 v[68:71], v[50:51], off offset:224
	global_load_b128 v[52:55], v[48:49], off offset:48
	;; [unrolled: 1-line block ×4, first 2 shown]
	v_add_co_u32 v0, vcc_lo, 0x7120, v0
	v_add_co_ci_u32_e32 v1, vcc_lo, 0, v1, vcc_lo
	s_waitcnt vmcnt(3) lgkmcnt(5)
	v_mul_f64 v[48:49], v[46:47], v[70:71]
	scratch_store_b128 off, v[68:71], off offset:2332 ; 16-byte Folded Spill
	v_fma_f64 v[48:49], v[44:45], v[68:69], -v[48:49]
	v_mul_f64 v[44:45], v[44:45], v[70:71]
	scratch_store_b64 off, v[48:49], off offset:2824 ; 8-byte Folded Spill
	v_fma_f64 v[44:45], v[46:47], v[68:69], v[44:45]
	scratch_store_b64 off, v[44:45], off offset:2832 ; 8-byte Folded Spill
	s_waitcnt vmcnt(0)
	scratch_store_b128 off, v[60:63], off offset:2348 ; 16-byte Folded Spill
	s_waitcnt lgkmcnt(4)
	v_mul_f64 v[44:45], v[42:43], v[62:63]
	s_delay_alu instid0(VALU_DEP_1)
	v_fma_f64 v[44:45], v[40:41], v[60:61], -v[44:45]
	v_mul_f64 v[40:41], v[40:41], v[62:63]
	scratch_store_b64 off, v[44:45], off offset:2792 ; 8-byte Folded Spill
	v_fma_f64 v[40:41], v[42:43], v[60:61], v[40:41]
	s_clause 0x1
	scratch_store_b64 off, v[40:41], off offset:2800
	scratch_store_b128 off, v[56:59], off offset:2364
	s_waitcnt lgkmcnt(3)
	v_mul_f64 v[40:41], v[38:39], v[58:59]
	s_delay_alu instid0(VALU_DEP_1) | instskip(SKIP_1) | instid1(VALU_DEP_1)
	v_fma_f64 v[222:223], v[36:37], v[56:57], -v[40:41]
	v_mul_f64 v[36:37], v[36:37], v[58:59]
	v_fma_f64 v[36:37], v[38:39], v[56:57], v[36:37]
	s_clause 0x1
	scratch_store_b64 off, v[36:37], off offset:2784
	scratch_store_b128 off, v[52:55], off offset:2380
	s_waitcnt lgkmcnt(2)
	v_mul_f64 v[36:37], v[30:31], v[54:55]
	s_delay_alu instid0(VALU_DEP_1) | instskip(SKIP_1) | instid1(VALU_DEP_1)
	v_fma_f64 v[36:37], v[28:29], v[52:53], -v[36:37]
	v_mul_f64 v[28:29], v[28:29], v[54:55]
	v_fma_f64 v[28:29], v[30:31], v[52:53], v[28:29]
	scratch_store_b64 off, v[36:37], off offset:2808 ; 8-byte Folded Spill
	global_load_b128 v[36:39], v[50:51], off offset:288
	scratch_store_b64 off, v[28:29], off offset:2816 ; 8-byte Folded Spill
	global_load_b128 v[28:31], v[0:1], off offset:16
	s_waitcnt vmcnt(1) lgkmcnt(1)
	v_mul_f64 v[0:1], v[26:27], v[38:39]
	scratch_store_b128 off, v[36:39], off offset:2396 ; 16-byte Folded Spill
	s_waitcnt vmcnt(0)
	scratch_store_b128 off, v[28:31], off offset:2412 ; 16-byte Folded Spill
	v_fma_f64 v[0:1], v[24:25], v[36:37], -v[0:1]
	scratch_store_b64 off, v[0:1], off offset:2840 ; 8-byte Folded Spill
	v_mul_f64 v[0:1], v[24:25], v[38:39]
	v_add_f64 v[24:25], v[14:15], v[6:7]
	v_add_f64 v[6:7], v[14:15], -v[6:7]
	v_add_f64 v[14:15], v[64:65], v[12:13]
	v_add_f64 v[12:13], v[12:13], -v[64:65]
	v_fma_f64 v[0:1], v[26:27], v[36:37], v[0:1]
	scratch_store_b64 off, v[0:1], off offset:2848 ; 8-byte Folded Spill
	s_waitcnt lgkmcnt(0)
	v_mul_f64 v[0:1], v[22:23], v[30:31]
	s_delay_alu instid0(VALU_DEP_1) | instskip(SKIP_4) | instid1(VALU_DEP_3)
	v_fma_f64 v[0:1], v[20:21], v[28:29], -v[0:1]
	scratch_store_b64 off, v[0:1], off offset:2856 ; 8-byte Folded Spill
	v_mul_f64 v[0:1], v[20:21], v[30:31]
	v_add_f64 v[20:21], v[32:33], v[2:3]
	v_add_f64 v[2:3], v[32:33], -v[2:3]
	v_fma_f64 v[0:1], v[22:23], v[28:29], v[0:1]
	v_add_f64 v[22:23], v[16:17], v[8:9]
	v_add_f64 v[8:9], v[16:17], -v[8:9]
	v_add_f64 v[16:17], v[18:19], v[10:11]
	v_add_f64 v[10:11], v[10:11], -v[18:19]
	v_add_f64 v[26:27], v[24:25], v[20:21]
	v_add_f64 v[30:31], v[24:25], -v[20:21]
	scratch_store_b64 off, v[0:1], off offset:2864 ; 8-byte Folded Spill
	v_add_f64 v[0:1], v[34:35], v[4:5]
	v_add_f64 v[4:5], v[34:35], -v[4:5]
	v_add_f64 v[20:21], v[20:21], -v[16:17]
	;; [unrolled: 1-line block ×3, first 2 shown]
	v_add_f64 v[32:33], v[12:13], v[8:9]
	v_add_f64 v[34:35], v[10:11], v[6:7]
	v_add_f64 v[36:37], v[12:13], -v[8:9]
	v_add_f64 v[38:39], v[10:11], -v[6:7]
	;; [unrolled: 1-line block ×3, first 2 shown]
	v_add_f64 v[16:17], v[16:17], v[26:27]
	v_add_f64 v[10:11], v[2:3], -v[10:11]
	v_add_f64 v[18:19], v[22:23], v[0:1]
	v_add_f64 v[28:29], v[22:23], -v[0:1]
	v_add_f64 v[0:1], v[0:1], -v[14:15]
	;; [unrolled: 1-line block ×5, first 2 shown]
	v_add_f64 v[4:5], v[32:33], v[4:5]
	v_add_f64 v[2:3], v[34:35], v[2:3]
	v_mul_f64 v[26:27], v[24:25], s[8:9]
	v_add_f64 v[210:211], v[210:211], v[16:17]
	v_mul_f64 v[32:33], v[36:37], s[22:23]
	v_mul_f64 v[34:35], v[38:39], s[22:23]
	;; [unrolled: 1-line block ×3, first 2 shown]
	v_add_f64 v[14:15], v[14:15], v[18:19]
	v_mul_f64 v[18:19], v[20:21], s[26:27]
	v_mul_f64 v[0:1], v[0:1], s[26:27]
	;; [unrolled: 1-line block ×4, first 2 shown]
	v_fma_f64 v[26:27], v[30:31], s[14:15], -v[26:27]
	v_fma_f64 v[16:17], v[16:17], s[20:21], v[210:211]
	v_fma_f64 v[8:9], v[8:9], s[24:25], -v[32:33]
	v_fma_f64 v[6:7], v[6:7], s[24:25], -v[34:35]
	v_add_f64 v[208:209], v[208:209], v[14:15]
	v_fma_f64 v[24:25], v[24:25], s[8:9], v[18:19]
	v_fma_f64 v[22:23], v[22:23], s[8:9], v[0:1]
	v_fma_f64 v[20:21], v[28:29], s[14:15], -v[20:21]
	v_fma_f64 v[0:1], v[28:29], s[16:17], -v[0:1]
	v_fma_f64 v[18:19], v[30:31], s[16:17], -v[18:19]
	v_fma_f64 v[30:31], v[10:11], s[10:11], v[34:35]
	v_fma_f64 v[10:11], v[10:11], s[18:19], v[38:39]
	;; [unrolled: 1-line block ×4, first 2 shown]
	v_add_f64 v[26:27], v[26:27], v[16:17]
	v_fma_f64 v[8:9], v[4:5], s[2:3], v[8:9]
	v_fma_f64 v[6:7], v[2:3], s[2:3], v[6:7]
	v_fma_f64 v[14:15], v[14:15], s[20:21], v[208:209]
	v_add_f64 v[24:25], v[24:25], v[16:17]
	s_delay_alu instid0(VALU_DEP_4)
	v_add_f64 v[50:51], v[8:9], v[26:27]
	v_add_f64 v[46:47], v[26:27], -v[8:9]
	v_add_f64 v[8:9], v[252:253], v[156:157]
	v_add_f64 v[22:23], v[22:23], v[14:15]
	;; [unrolled: 1-line block ×5, first 2 shown]
	v_fma_f64 v[18:19], v[2:3], s[2:3], v[30:31]
	v_fma_f64 v[2:3], v[2:3], s[2:3], v[10:11]
	;; [unrolled: 1-line block ×4, first 2 shown]
	v_add_f64 v[10:11], v[164:165], v[154:155]
	v_add_f64 v[12:13], v[252:253], -v[156:157]
	scratch_load_b64 v[156:157], off, off offset:2872 ; 8-byte Folded Reload
	v_add_f64 v[48:49], v[20:21], -v[6:7]
	v_add_f64 v[44:45], v[6:7], v[20:21]
	v_add_f64 v[6:7], v[168:169], -v[66:67]
	v_add_f64 v[56:57], v[18:19], v[22:23]
	v_add_f64 v[60:61], v[2:3], v[0:1]
	v_add_f64 v[40:41], v[0:1], -v[2:3]
	v_add_f64 v[0:1], v[254:255], v[152:153]
	v_add_f64 v[2:3], v[168:169], v[66:67]
	v_add_f64 v[58:59], v[24:25], -v[16:17]
	v_add_f64 v[62:63], v[14:15], -v[4:5]
	v_add_f64 v[42:43], v[4:5], v[14:15]
	v_add_f64 v[36:37], v[22:23], -v[18:19]
	v_add_f64 v[38:39], v[16:17], v[24:25]
	v_add_f64 v[4:5], v[254:255], -v[152:153]
	v_add_f64 v[14:15], v[164:165], -v[154:155]
	v_add_f64 v[16:17], v[166:167], v[250:251]
	v_add_f64 v[18:19], v[160:161], v[158:159]
	v_add_f64 v[20:21], v[250:251], -v[166:167]
	v_add_f64 v[22:23], v[158:159], -v[160:161]
	scratch_load_b64 v[158:159], off, off offset:2880 ; 8-byte Folded Reload
	v_add_f64 v[24:25], v[8:9], v[0:1]
	v_add_f64 v[26:27], v[10:11], v[2:3]
	v_add_f64 v[28:29], v[8:9], -v[0:1]
	v_add_f64 v[30:31], v[10:11], -v[2:3]
	v_add_f64 v[0:1], v[0:1], -v[16:17]
	v_add_f64 v[2:3], v[2:3], -v[18:19]
	v_add_f64 v[8:9], v[16:17], -v[8:9]
	v_add_f64 v[10:11], v[18:19], -v[10:11]
	v_add_f64 v[32:33], v[20:21], v[12:13]
	v_add_f64 v[34:35], v[22:23], v[14:15]
	v_add_f64 v[52:53], v[20:21], -v[12:13]
	v_add_f64 v[54:55], v[22:23], -v[14:15]
	;; [unrolled: 1-line block ×6, first 2 shown]
	v_add_f64 v[16:17], v[16:17], v[24:25]
	v_add_f64 v[18:19], v[18:19], v[26:27]
	v_mul_f64 v[0:1], v[0:1], s[26:27]
	v_mul_f64 v[2:3], v[2:3], s[26:27]
	v_add_f64 v[24:25], v[32:33], v[4:5]
	v_add_f64 v[26:27], v[34:35], v[6:7]
	v_mul_f64 v[32:33], v[8:9], s[8:9]
	v_mul_f64 v[34:35], v[10:11], s[8:9]
	;; [unrolled: 1-line block ×6, first 2 shown]
	v_add_f64 v[4:5], v[204:205], v[16:17]
	v_add_f64 v[6:7], v[206:207], v[18:19]
	v_fma_f64 v[8:9], v[8:9], s[8:9], v[0:1]
	v_fma_f64 v[10:11], v[10:11], s[8:9], v[2:3]
	v_fma_f64 v[0:1], v[28:29], s[16:17], -v[0:1]
	v_fma_f64 v[2:3], v[30:31], s[16:17], -v[2:3]
	;; [unrolled: 1-line block ×4, first 2 shown]
	v_fma_f64 v[28:29], v[20:21], s[10:11], v[52:53]
	v_fma_f64 v[30:31], v[22:23], s[10:11], v[54:55]
	v_fma_f64 v[12:13], v[12:13], s[24:25], -v[52:53]
	v_fma_f64 v[14:15], v[14:15], s[24:25], -v[54:55]
	v_fma_f64 v[20:21], v[20:21], s[18:19], v[64:65]
	v_fma_f64 v[22:23], v[22:23], s[18:19], v[66:67]
	;; [unrolled: 1-line block ×8, first 2 shown]
	v_add_f64 v[32:33], v[32:33], v[16:17]
	v_add_f64 v[34:35], v[34:35], v[18:19]
	;; [unrolled: 1-line block ×6, first 2 shown]
	v_fma_f64 v[16:17], v[24:25], s[2:3], v[28:29]
	v_fma_f64 v[18:19], v[26:27], s[2:3], v[30:31]
	v_add_f64 v[24:25], v[32:33], -v[14:15]
	v_add_f64 v[26:27], v[12:13], v[34:35]
	v_add_f64 v[52:53], v[66:67], v[0:1]
	v_add_f64 v[54:55], v[2:3], -v[64:65]
	v_add_f64 v[20:21], v[14:15], v[32:33]
	v_add_f64 v[22:23], v[34:35], -v[12:13]
	v_add_f64 v[68:69], v[0:1], -v[66:67]
	v_add_f64 v[70:71], v[64:65], v[2:3]
	v_add_f64 v[0:1], v[148:149], v[128:129]
	;; [unrolled: 1-line block ×6, first 2 shown]
	v_add_f64 v[30:31], v[10:11], -v[16:17]
	v_add_f64 v[72:73], v[8:9], -v[18:19]
	v_add_f64 v[74:75], v[16:17], v[10:11]
	v_add_f64 v[8:9], v[148:149], -v[128:129]
	v_add_f64 v[10:11], v[218:219], -v[124:125]
	;; [unrolled: 1-line block ×4, first 2 shown]
	v_add_f64 v[32:33], v[142:143], v[136:137]
	v_add_f64 v[34:35], v[138:139], v[134:135]
	v_add_f64 v[64:65], v[136:137], -v[142:143]
	v_add_f64 v[66:67], v[134:135], -v[138:139]
	v_add_f64 v[124:125], v[184:185], v[172:173]
	v_add_f64 v[128:129], v[172:173], -v[184:185]
	v_add_f64 v[130:131], v[170:171], -v[182:183]
	v_add_f64 v[76:77], v[12:13], v[0:1]
	v_add_f64 v[78:79], v[14:15], v[2:3]
	v_add_f64 v[80:81], v[12:13], -v[0:1]
	v_add_f64 v[82:83], v[14:15], -v[2:3]
	s_waitcnt vmcnt(1)
	v_add_f64 v[152:153], v[156:157], v[240:241]
	v_add_f64 v[84:85], v[0:1], -v[32:33]
	v_add_f64 v[86:87], v[2:3], -v[34:35]
	;; [unrolled: 1-line block ×4, first 2 shown]
	v_add_f64 v[0:1], v[64:65], v[16:17]
	v_add_f64 v[2:3], v[66:67], v[18:19]
	v_add_f64 v[88:89], v[64:65], -v[16:17]
	v_add_f64 v[90:91], v[66:67], -v[18:19]
	;; [unrolled: 1-line block ×7, first 2 shown]
	v_add_f64 v[32:33], v[32:33], v[76:77]
	v_add_f64 v[34:35], v[34:35], v[78:79]
	v_mul_f64 v[76:77], v[84:85], s[26:27]
	v_mul_f64 v[78:79], v[86:87], s[26:27]
	;; [unrolled: 1-line block ×4, first 2 shown]
	v_add_f64 v[8:9], v[0:1], v[8:9]
	v_add_f64 v[10:11], v[2:3], v[10:11]
	v_mul_f64 v[88:89], v[88:89], s[22:23]
	v_mul_f64 v[90:91], v[90:91], s[22:23]
	;; [unrolled: 1-line block ×4, first 2 shown]
	s_waitcnt vmcnt(0)
	v_add_f64 v[154:155], v[158:159], v[194:195]
	v_add_f64 v[158:159], v[194:195], -v[158:159]
	v_add_f64 v[0:1], v[224:225], v[32:33]
	v_add_f64 v[2:3], v[226:227], v[34:35]
	v_fma_f64 v[12:13], v[12:13], s[8:9], v[76:77]
	v_fma_f64 v[14:15], v[14:15], s[8:9], v[78:79]
	v_fma_f64 v[84:85], v[80:81], s[14:15], -v[84:85]
	v_fma_f64 v[86:87], v[82:83], s[14:15], -v[86:87]
	;; [unrolled: 1-line block ×4, first 2 shown]
	v_fma_f64 v[80:81], v[64:65], s[10:11], v[88:89]
	v_fma_f64 v[82:83], v[66:67], s[10:11], v[90:91]
	v_fma_f64 v[16:17], v[16:17], s[24:25], -v[88:89]
	v_fma_f64 v[18:19], v[18:19], s[24:25], -v[90:91]
	v_fma_f64 v[64:65], v[64:65], s[18:19], v[92:93]
	v_fma_f64 v[66:67], v[66:67], s[18:19], v[94:95]
	;; [unrolled: 1-line block ×10, first 2 shown]
	v_add_f64 v[64:65], v[116:117], v[114:115]
	v_add_f64 v[66:67], v[112:113], v[108:109]
	;; [unrolled: 1-line block ×9, first 2 shown]
	v_add_f64 v[82:83], v[14:15], -v[98:99]
	v_add_f64 v[84:85], v[88:89], -v[18:19]
	v_add_f64 v[86:87], v[16:17], v[90:91]
	v_add_f64 v[76:77], v[10:11], v[32:33]
	v_add_f64 v[78:79], v[34:35], -v[8:9]
	v_add_f64 v[88:89], v[18:19], v[88:89]
	v_add_f64 v[90:91], v[90:91], -v[16:17]
	v_add_f64 v[92:93], v[32:33], -v[10:11]
	v_add_f64 v[94:95], v[8:9], v[34:35]
	v_add_f64 v[8:9], v[216:217], v[106:107]
	;; [unrolled: 1-line block ×5, first 2 shown]
	v_add_f64 v[96:97], v[12:13], -v[96:97]
	v_add_f64 v[98:99], v[98:99], v[14:15]
	v_add_f64 v[12:13], v[216:217], -v[106:107]
	v_add_f64 v[14:15], v[120:121], -v[100:101]
	;; [unrolled: 1-line block ×5, first 2 shown]
	v_add_f64 v[104:105], v[16:17], v[8:9]
	v_add_f64 v[106:107], v[18:19], v[10:11]
	v_add_f64 v[108:109], v[16:17], -v[8:9]
	v_add_f64 v[110:111], v[18:19], -v[10:11]
	;; [unrolled: 1-line block ×6, first 2 shown]
	v_add_f64 v[112:113], v[100:101], v[32:33]
	v_add_f64 v[114:115], v[102:103], v[34:35]
	v_add_f64 v[116:117], v[100:101], -v[32:33]
	v_add_f64 v[118:119], v[102:103], -v[34:35]
	;; [unrolled: 1-line block ×6, first 2 shown]
	v_add_f64 v[64:65], v[64:65], v[104:105]
	v_add_f64 v[66:67], v[66:67], v[106:107]
	v_mul_f64 v[8:9], v[8:9], s[26:27]
	v_mul_f64 v[10:11], v[10:11], s[26:27]
	v_add_f64 v[104:105], v[112:113], v[12:13]
	v_add_f64 v[106:107], v[114:115], v[14:15]
	v_mul_f64 v[112:113], v[16:17], s[8:9]
	v_mul_f64 v[114:115], v[18:19], s[8:9]
	;; [unrolled: 1-line block ×6, first 2 shown]
	v_add_f64 v[12:13], v[246:247], v[64:65]
	v_add_f64 v[14:15], v[248:249], v[66:67]
	v_fma_f64 v[16:17], v[16:17], s[8:9], v[8:9]
	v_fma_f64 v[18:19], v[18:19], s[8:9], v[10:11]
	v_fma_f64 v[8:9], v[108:109], s[16:17], -v[8:9]
	v_fma_f64 v[10:11], v[110:111], s[16:17], -v[10:11]
	;; [unrolled: 1-line block ×4, first 2 shown]
	v_fma_f64 v[108:109], v[100:101], s[10:11], v[116:117]
	v_fma_f64 v[110:111], v[102:103], s[10:11], v[118:119]
	v_fma_f64 v[32:33], v[32:33], s[24:25], -v[116:117]
	v_fma_f64 v[34:35], v[34:35], s[24:25], -v[118:119]
	v_fma_f64 v[100:101], v[100:101], s[18:19], v[120:121]
	v_fma_f64 v[102:103], v[102:103], s[18:19], v[122:123]
	;; [unrolled: 1-line block ×8, first 2 shown]
	v_add_f64 v[112:113], v[112:113], v[64:65]
	v_add_f64 v[114:115], v[114:115], v[66:67]
	;; [unrolled: 1-line block ×6, first 2 shown]
	v_fma_f64 v[64:65], v[104:105], s[2:3], v[108:109]
	v_fma_f64 v[66:67], v[106:107], s[2:3], v[110:111]
	v_add_f64 v[108:109], v[112:113], -v[34:35]
	v_add_f64 v[110:111], v[32:33], v[114:115]
	v_add_f64 v[100:101], v[116:117], v[8:9]
	v_add_f64 v[102:103], v[10:11], -v[118:119]
	v_add_f64 v[112:113], v[34:35], v[112:113]
	v_add_f64 v[114:115], v[114:115], -v[32:33]
	v_add_f64 v[116:117], v[8:9], -v[116:117]
	v_add_f64 v[118:119], v[118:119], v[10:11]
	v_add_f64 v[8:9], v[176:177], v[126:127]
	;; [unrolled: 1-line block ×6, first 2 shown]
	v_add_f64 v[106:107], v[18:19], -v[64:65]
	v_add_f64 v[120:121], v[16:17], -v[66:67]
	v_add_f64 v[122:123], v[64:65], v[18:19]
	v_add_f64 v[16:17], v[176:177], -v[126:127]
	v_add_f64 v[64:65], v[180:181], -v[162:163]
	;; [unrolled: 1-line block ×3, first 2 shown]
	v_add_f64 v[126:127], v[182:183], v[170:171]
	v_add_f64 v[18:19], v[174:175], -v[146:147]
	v_add_f64 v[132:133], v[32:33], v[8:9]
	v_add_f64 v[134:135], v[34:35], v[10:11]
	v_add_f64 v[136:137], v[32:33], -v[8:9]
	v_add_f64 v[138:139], v[34:35], -v[10:11]
	;; [unrolled: 1-line block ×4, first 2 shown]
	v_add_f64 v[140:141], v[128:129], v[64:65]
	v_add_f64 v[142:143], v[130:131], v[66:67]
	v_add_f64 v[10:11], v[10:11], -v[126:127]
	v_add_f64 v[34:35], v[126:127], -v[34:35]
	;; [unrolled: 1-line block ×8, first 2 shown]
	v_add_f64 v[124:125], v[124:125], v[132:133]
	v_add_f64 v[126:127], v[126:127], v[134:135]
	v_mul_f64 v[8:9], v[8:9], s[26:27]
	v_add_f64 v[132:133], v[140:141], v[16:17]
	v_add_f64 v[134:135], v[142:143], v[18:19]
	v_mul_f64 v[10:11], v[10:11], s[26:27]
	v_mul_f64 v[140:141], v[32:33], s[8:9]
	;; [unrolled: 1-line block ×7, first 2 shown]
	v_add_f64 v[16:17], v[200:201], v[124:125]
	v_add_f64 v[18:19], v[202:203], v[126:127]
	v_fma_f64 v[32:33], v[32:33], s[8:9], v[8:9]
	v_fma_f64 v[8:9], v[136:137], s[16:17], -v[8:9]
	v_fma_f64 v[34:35], v[34:35], s[8:9], v[10:11]
	v_fma_f64 v[140:141], v[136:137], s[14:15], -v[140:141]
	v_fma_f64 v[142:143], v[138:139], s[14:15], -v[142:143]
	;; [unrolled: 1-line block ×3, first 2 shown]
	v_fma_f64 v[136:137], v[128:129], s[10:11], v[144:145]
	v_fma_f64 v[138:139], v[130:131], s[10:11], v[146:147]
	v_fma_f64 v[64:65], v[64:65], s[24:25], -v[144:145]
	v_fma_f64 v[128:129], v[128:129], s[18:19], v[148:149]
	v_fma_f64 v[66:67], v[66:67], s[24:25], -v[146:147]
	v_fma_f64 v[130:131], v[130:131], s[18:19], v[150:151]
	v_fma_f64 v[124:125], v[124:125], s[20:21], v[16:17]
	;; [unrolled: 1-line block ×9, first 2 shown]
	v_add_f64 v[32:33], v[32:33], v[124:125]
	v_add_f64 v[142:143], v[142:143], v[126:127]
	;; [unrolled: 1-line block ×8, first 2 shown]
	v_add_f64 v[126:127], v[10:11], -v[148:149]
	v_add_f64 v[138:139], v[142:143], -v[64:65]
	v_add_f64 v[142:143], v[148:149], v[10:11]
	v_add_f64 v[144:145], v[32:33], -v[144:145]
	s_clause 0x1
	scratch_load_b64 v[32:33], off, off offset:2888
	scratch_load_b64 v[148:149], off, off offset:2896
	v_add_f64 v[124:125], v[150:151], v[8:9]
	v_add_f64 v[132:133], v[140:141], -v[66:67]
	v_add_f64 v[136:137], v[66:67], v[140:141]
	v_add_f64 v[140:141], v[8:9], -v[150:151]
	v_add_f64 v[10:11], v[198:199], v[186:187]
	v_add_f64 v[66:67], v[220:221], v[190:191]
	v_add_f64 v[130:131], v[34:35], -v[146:147]
	v_add_f64 v[146:147], v[146:147], v[34:35]
	v_add_f64 v[34:35], v[198:199], -v[186:187]
	v_add_f64 v[150:151], v[220:221], -v[190:191]
	v_add_f64 v[162:163], v[66:67], v[10:11]
	v_add_f64 v[166:167], v[66:67], -v[10:11]
	v_add_f64 v[10:11], v[10:11], -v[154:155]
	;; [unrolled: 1-line block ×3, first 2 shown]
	v_add_f64 v[170:171], v[158:159], v[150:151]
	v_add_f64 v[174:175], v[158:159], -v[150:151]
	v_add_f64 v[150:151], v[150:151], -v[34:35]
	;; [unrolled: 1-line block ×3, first 2 shown]
	v_add_f64 v[154:155], v[154:155], v[162:163]
	v_mul_f64 v[10:11], v[10:11], s[26:27]
	v_add_f64 v[162:163], v[170:171], v[34:35]
	v_mul_f64 v[170:171], v[66:67], s[8:9]
	v_mul_f64 v[174:175], v[174:175], s[22:23]
	;; [unrolled: 1-line block ×3, first 2 shown]
	v_add_f64 v[34:35], v[214:215], v[154:155]
	v_fma_f64 v[66:67], v[66:67], s[8:9], v[10:11]
	v_fma_f64 v[10:11], v[166:167], s[16:17], -v[10:11]
	v_fma_f64 v[170:171], v[166:167], s[14:15], -v[170:171]
	v_fma_f64 v[166:167], v[158:159], s[10:11], v[174:175]
	v_fma_f64 v[150:151], v[150:151], s[24:25], -v[174:175]
	v_fma_f64 v[158:159], v[158:159], s[18:19], v[178:179]
	v_fma_f64 v[154:155], v[154:155], s[20:21], v[34:35]
	s_delay_alu instid0(VALU_DEP_4) | instskip(NEXT) | instid1(VALU_DEP_4)
	v_fma_f64 v[174:175], v[162:163], s[2:3], v[166:167]
	v_fma_f64 v[166:167], v[162:163], s[2:3], v[150:151]
	s_delay_alu instid0(VALU_DEP_4) | instskip(NEXT) | instid1(VALU_DEP_4)
	v_fma_f64 v[178:179], v[162:163], s[2:3], v[158:159]
	v_add_f64 v[66:67], v[66:67], v[154:155]
	v_add_f64 v[170:171], v[170:171], v[154:155]
	;; [unrolled: 1-line block ×3, first 2 shown]
	s_waitcnt vmcnt(1)
	v_add_f64 v[8:9], v[32:33], v[188:189]
	s_waitcnt vmcnt(0)
	v_add_f64 v[64:65], v[148:149], v[192:193]
	v_add_f64 v[32:33], v[32:33], -v[188:189]
	v_add_f64 v[148:149], v[148:149], -v[192:193]
	s_delay_alu instid0(VALU_DEP_3)
	v_add_f64 v[160:161], v[64:65], v[8:9]
	v_add_f64 v[164:165], v[64:65], -v[8:9]
	v_add_f64 v[8:9], v[8:9], -v[152:153]
	;; [unrolled: 1-line block ×3, first 2 shown]
	v_add_f64 v[168:169], v[156:157], v[148:149]
	v_add_f64 v[172:173], v[156:157], -v[148:149]
	v_add_f64 v[148:149], v[148:149], -v[32:33]
	;; [unrolled: 1-line block ×3, first 2 shown]
	v_add_f64 v[152:153], v[152:153], v[160:161]
	v_mul_f64 v[8:9], v[8:9], s[26:27]
	v_add_f64 v[160:161], v[168:169], v[32:33]
	v_mul_f64 v[168:169], v[64:65], s[8:9]
	v_mul_f64 v[172:173], v[172:173], s[22:23]
	;; [unrolled: 1-line block ×3, first 2 shown]
	v_add_f64 v[32:33], v[212:213], v[152:153]
	v_fma_f64 v[64:65], v[64:65], s[8:9], v[8:9]
	v_fma_f64 v[8:9], v[164:165], s[16:17], -v[8:9]
	v_fma_f64 v[168:169], v[164:165], s[14:15], -v[168:169]
	v_fma_f64 v[164:165], v[156:157], s[10:11], v[172:173]
	v_fma_f64 v[148:149], v[148:149], s[24:25], -v[172:173]
	v_fma_f64 v[156:157], v[156:157], s[18:19], v[176:177]
	v_fma_f64 v[152:153], v[152:153], s[20:21], v[32:33]
	s_delay_alu instid0(VALU_DEP_4) | instskip(NEXT) | instid1(VALU_DEP_4)
	v_fma_f64 v[172:173], v[160:161], s[2:3], v[164:165]
	v_fma_f64 v[164:165], v[160:161], s[2:3], v[148:149]
	s_delay_alu instid0(VALU_DEP_4) | instskip(NEXT) | instid1(VALU_DEP_4)
	v_fma_f64 v[176:177], v[160:161], s[2:3], v[156:157]
	v_add_f64 v[64:65], v[64:65], v[152:153]
	v_add_f64 v[168:169], v[168:169], v[152:153]
	;; [unrolled: 1-line block ×3, first 2 shown]
	v_add_f64 v[154:155], v[66:67], -v[172:173]
	v_add_f64 v[158:159], v[164:165], v[170:171]
	v_add_f64 v[150:151], v[10:11], -v[176:177]
	v_add_f64 v[162:163], v[170:171], -v[164:165]
	v_add_f64 v[170:171], v[172:173], v[66:67]
	v_add_f64 v[152:153], v[174:175], v[64:65]
	v_add_f64 v[156:157], v[168:169], -v[166:167]
	v_add_f64 v[148:149], v[178:179], v[8:9]
	v_add_f64 v[160:161], v[166:167], v[168:169]
	v_add_f64 v[164:165], v[8:9], -v[178:179]
	v_add_f64 v[166:167], v[176:177], v[10:11]
	v_add_f64 v[168:169], v[64:65], -v[174:175]
	s_clause 0xa
	scratch_load_b64 v[64:65], off, off offset:2824
	scratch_load_b64 v[172:173], off, off offset:2856
	;; [unrolled: 1-line block ×11, first 2 shown]
	s_waitcnt vmcnt(9)
	v_add_f64 v[8:9], v[64:65], v[172:173]
	s_waitcnt vmcnt(7)
	v_add_f64 v[10:11], v[66:67], v[174:175]
	v_add_f64 v[64:65], v[64:65], -v[172:173]
	v_add_f64 v[66:67], v[66:67], -v[174:175]
	s_waitcnt vmcnt(5)
	v_add_f64 v[172:173], v[176:177], v[180:181]
	s_waitcnt vmcnt(3)
	v_add_f64 v[174:175], v[178:179], v[182:183]
	v_add_f64 v[176:177], v[176:177], -v[180:181]
	v_add_f64 v[178:179], v[178:179], -v[182:183]
	s_waitcnt vmcnt(2)
	v_add_f64 v[180:181], v[222:223], v[184:185]
	s_waitcnt vmcnt(0)
	v_add_f64 v[182:183], v[186:187], v[188:189]
	v_add_f64 v[184:185], v[184:185], -v[222:223]
	v_add_f64 v[186:187], v[188:189], -v[186:187]
	v_add_f64 v[188:189], v[172:173], v[8:9]
	v_add_f64 v[190:191], v[174:175], v[10:11]
	v_add_f64 v[192:193], v[172:173], -v[8:9]
	v_add_f64 v[194:195], v[174:175], -v[10:11]
	;; [unrolled: 1-line block ×4, first 2 shown]
	v_add_f64 v[198:199], v[184:185], v[176:177]
	v_add_f64 v[200:201], v[186:187], v[178:179]
	v_add_f64 v[172:173], v[180:181], -v[172:173]
	v_add_f64 v[174:175], v[182:183], -v[174:175]
	;; [unrolled: 1-line block ×8, first 2 shown]
	v_add_f64 v[180:181], v[180:181], v[188:189]
	v_add_f64 v[182:183], v[182:183], v[190:191]
	v_mul_f64 v[8:9], v[8:9], s[26:27]
	v_mul_f64 v[10:11], v[10:11], s[26:27]
	v_add_f64 v[188:189], v[198:199], v[64:65]
	v_add_f64 v[190:191], v[200:201], v[66:67]
	scratch_load_b128 v[64:67], off, off offset:2768 ; 16-byte Folded Reload
	v_mul_f64 v[198:199], v[172:173], s[8:9]
	v_mul_f64 v[200:201], v[174:175], s[8:9]
	v_mul_f64 v[202:203], v[202:203], s[22:23]
	v_mul_f64 v[204:205], v[204:205], s[22:23]
	s_mov_b32 s23, 0x3fe11646
	v_mul_f64 v[206:207], v[176:177], s[4:5]
	v_mul_f64 v[212:213], v[178:179], s[4:5]
	v_fma_f64 v[172:173], v[172:173], s[8:9], v[8:9]
	v_fma_f64 v[174:175], v[174:175], s[8:9], v[10:11]
	v_fma_f64 v[8:9], v[192:193], s[16:17], -v[8:9]
	v_fma_f64 v[10:11], v[194:195], s[16:17], -v[10:11]
	;; [unrolled: 1-line block ×4, first 2 shown]
	v_fma_f64 v[192:193], v[184:185], s[10:11], v[202:203]
	v_fma_f64 v[194:195], v[186:187], s[10:11], v[204:205]
	v_fma_f64 v[176:177], v[176:177], s[24:25], -v[202:203]
	v_fma_f64 v[178:179], v[178:179], s[24:25], -v[204:205]
	v_fma_f64 v[184:185], v[184:185], s[18:19], v[206:207]
	v_fma_f64 v[186:187], v[186:187], s[18:19], v[212:213]
	;; [unrolled: 1-line block ×4, first 2 shown]
	s_waitcnt vmcnt(0)
	v_add_f64 v[64:65], v[64:65], v[180:181]
	v_add_f64 v[66:67], v[66:67], v[182:183]
	s_delay_alu instid0(VALU_DEP_2) | instskip(NEXT) | instid1(VALU_DEP_2)
	v_fma_f64 v[180:181], v[180:181], s[20:21], v[64:65]
	v_fma_f64 v[182:183], v[182:183], s[20:21], v[66:67]
	s_delay_alu instid0(VALU_DEP_2) | instskip(NEXT) | instid1(VALU_DEP_2)
	v_add_f64 v[202:203], v[172:173], v[180:181]
	v_add_f64 v[204:205], v[174:175], v[182:183]
	;; [unrolled: 1-line block ×6, first 2 shown]
	v_fma_f64 v[182:183], v[188:189], s[2:3], v[176:177]
	v_fma_f64 v[180:181], v[190:191], s[2:3], v[178:179]
	;; [unrolled: 1-line block ×4, first 2 shown]
	s_mov_b32 s3, 0xbfdc38aa
	v_add_f64 v[8:9], v[194:195], v[202:203]
	v_add_f64 v[10:11], v[204:205], -v[192:193]
	v_add_f64 v[190:191], v[192:193], v[204:205]
	v_add_f64 v[178:179], v[182:183], v[200:201]
	v_add_f64 v[176:177], v[198:199], -v[180:181]
	v_add_f64 v[174:175], v[212:213], -v[188:189]
	v_add_f64 v[172:173], v[184:185], v[206:207]
	v_add_f64 v[180:181], v[180:181], v[198:199]
	v_add_f64 v[182:183], v[200:201], -v[182:183]
	v_add_f64 v[184:185], v[206:207], -v[184:185]
	v_add_f64 v[186:187], v[188:189], v[212:213]
	v_add_f64 v[188:189], v[202:203], -v[194:195]
	ds_store_b128 v196, v[208:211]
	ds_store_b128 v196, v[56:59] offset:5488
	ds_store_b128 v196, v[60:63] offset:10976
	;; [unrolled: 1-line block ×48, first 2 shown]
	s_waitcnt lgkmcnt(0)
	s_waitcnt_vscnt null, 0x0
	s_barrier
	buffer_gl0_inv
	s_clause 0x1
	scratch_load_b32 v30, off, off offset:2764
	scratch_load_b64 v[4:5], off, off offset:2756
	ds_load_b128 v[0:3], v196
	v_add_co_u32 v10, vcc_lo, 0x9610, v197
	s_waitcnt vmcnt(1)
	v_add_co_ci_u32_e32 v11, vcc_lo, 0, v30, vcc_lo
	s_waitcnt vmcnt(0)
	global_load_b128 v[4:7], v[4:5], off offset:1552
	s_waitcnt vmcnt(0) lgkmcnt(0)
	v_mul_f64 v[8:9], v[2:3], v[6:7]
	s_delay_alu instid0(VALU_DEP_1) | instskip(SKIP_1) | instid1(VALU_DEP_1)
	v_fma_f64 v[12:13], v[0:1], v[4:5], -v[8:9]
	v_mul_f64 v[0:1], v[0:1], v[6:7]
	v_fma_f64 v[14:15], v[2:3], v[4:5], v[0:1]
	v_add_co_u32 v0, vcc_lo, 0xa000, v197
	v_add_co_ci_u32_e32 v1, vcc_lo, 0, v30, vcc_lo
	ds_load_b128 v[2:5], v196 offset:5488
	global_load_b128 v[6:9], v[0:1], off offset:2944
	ds_store_b128 v196, v[12:15]
	s_waitcnt vmcnt(0) lgkmcnt(1)
	v_mul_f64 v[12:13], v[4:5], v[8:9]
	s_delay_alu instid0(VALU_DEP_1) | instskip(SKIP_1) | instid1(VALU_DEP_1)
	v_fma_f64 v[12:13], v[2:3], v[6:7], -v[12:13]
	v_mul_f64 v[2:3], v[2:3], v[8:9]
	v_fma_f64 v[14:15], v[4:5], v[6:7], v[2:3]
	v_add_co_u32 v4, vcc_lo, 0xc000, v197
	v_add_co_ci_u32_e32 v5, vcc_lo, 0, v30, vcc_lo
	ds_load_b128 v[6:9], v196 offset:10976
	ds_store_b128 v196, v[12:15] offset:5488
	global_load_b128 v[12:15], v[4:5], off offset:240
	s_waitcnt vmcnt(0) lgkmcnt(1)
	v_mul_f64 v[2:3], v[8:9], v[14:15]
	s_delay_alu instid0(VALU_DEP_1) | instskip(SKIP_1) | instid1(VALU_DEP_1)
	v_fma_f64 v[16:17], v[6:7], v[12:13], -v[2:3]
	v_mul_f64 v[2:3], v[6:7], v[14:15]
	v_fma_f64 v[18:19], v[8:9], v[12:13], v[2:3]
	v_add_co_u32 v2, vcc_lo, 0xd000, v197
	v_add_co_ci_u32_e32 v3, vcc_lo, 0, v30, vcc_lo
	ds_load_b128 v[6:9], v196 offset:16464
	global_load_b128 v[12:15], v[2:3], off offset:1632
	ds_store_b128 v196, v[16:19] offset:10976
	s_waitcnt vmcnt(0) lgkmcnt(1)
	v_mul_f64 v[16:17], v[8:9], v[14:15]
	s_delay_alu instid0(VALU_DEP_1) | instskip(SKIP_1) | instid1(VALU_DEP_1)
	v_fma_f64 v[16:17], v[6:7], v[12:13], -v[16:17]
	v_mul_f64 v[6:7], v[6:7], v[14:15]
	v_fma_f64 v[18:19], v[8:9], v[12:13], v[6:7]
	v_add_co_u32 v6, vcc_lo, 0xe000, v197
	v_add_co_ci_u32_e32 v7, vcc_lo, 0, v30, vcc_lo
	ds_load_b128 v[12:15], v196 offset:21952
	ds_store_b128 v196, v[16:19] offset:16464
	global_load_b128 v[16:19], v[6:7], off offset:3024
	s_waitcnt vmcnt(0) lgkmcnt(1)
	v_mul_f64 v[8:9], v[14:15], v[18:19]
	s_delay_alu instid0(VALU_DEP_1) | instskip(SKIP_3) | instid1(VALU_DEP_3)
	v_fma_f64 v[20:21], v[12:13], v[16:17], -v[8:9]
	v_mul_f64 v[8:9], v[12:13], v[18:19]
	v_add_co_u32 v12, vcc_lo, 0x10000, v197
	v_add_co_ci_u32_e32 v13, vcc_lo, 0, v30, vcc_lo
	v_fma_f64 v[22:23], v[14:15], v[16:17], v[8:9]
	ds_load_b128 v[14:17], v196 offset:27440
	ds_store_b128 v196, v[20:23] offset:21952
	global_load_b128 v[18:21], v[12:13], off offset:320
	s_waitcnt vmcnt(0) lgkmcnt(1)
	v_mul_f64 v[8:9], v[16:17], v[20:21]
	s_delay_alu instid0(VALU_DEP_1) | instskip(SKIP_1) | instid1(VALU_DEP_1)
	v_fma_f64 v[22:23], v[14:15], v[18:19], -v[8:9]
	v_mul_f64 v[8:9], v[14:15], v[20:21]
	v_fma_f64 v[24:25], v[16:17], v[18:19], v[8:9]
	v_add_co_u32 v8, vcc_lo, 0x11000, v197
	v_add_co_ci_u32_e32 v9, vcc_lo, 0, v30, vcc_lo
	ds_load_b128 v[14:17], v196 offset:32928
	v_add_co_u32 v26, vcc_lo, 0xb000, v197
	global_load_b128 v[18:21], v[8:9], off offset:1712
	v_add_co_ci_u32_e32 v27, vcc_lo, 0, v30, vcc_lo
	v_add_co_u32 v28, vcc_lo, 0xf000, v197
	v_add_co_ci_u32_e32 v29, vcc_lo, 0, v30, vcc_lo
	ds_store_b128 v196, v[22:25] offset:27440
	s_waitcnt vmcnt(0) lgkmcnt(1)
	v_mul_f64 v[22:23], v[16:17], v[20:21]
	s_delay_alu instid0(VALU_DEP_1) | instskip(SKIP_1) | instid1(VALU_DEP_1)
	v_fma_f64 v[22:23], v[14:15], v[18:19], -v[22:23]
	v_mul_f64 v[14:15], v[14:15], v[20:21]
	v_fma_f64 v[24:25], v[16:17], v[18:19], v[14:15]
	global_load_b128 v[18:21], v[10:11], off offset:784
	ds_load_b128 v[14:17], v196 offset:784
	ds_store_b128 v196, v[22:25] offset:32928
	s_waitcnt vmcnt(0) lgkmcnt(1)
	v_mul_f64 v[22:23], v[16:17], v[20:21]
	s_delay_alu instid0(VALU_DEP_1) | instskip(SKIP_1) | instid1(VALU_DEP_1)
	v_fma_f64 v[22:23], v[14:15], v[18:19], -v[22:23]
	v_mul_f64 v[14:15], v[14:15], v[20:21]
	v_fma_f64 v[24:25], v[16:17], v[18:19], v[14:15]
	global_load_b128 v[18:21], v[0:1], off offset:3728
	ds_load_b128 v[14:17], v196 offset:6272
	ds_store_b128 v196, v[22:25] offset:784
	s_waitcnt vmcnt(0) lgkmcnt(1)
	v_mul_f64 v[22:23], v[16:17], v[20:21]
	s_delay_alu instid0(VALU_DEP_1) | instskip(SKIP_1) | instid1(VALU_DEP_1)
	v_fma_f64 v[22:23], v[14:15], v[18:19], -v[22:23]
	v_mul_f64 v[14:15], v[14:15], v[20:21]
	v_fma_f64 v[24:25], v[16:17], v[18:19], v[14:15]
	global_load_b128 v[18:21], v[4:5], off offset:1024
	ds_load_b128 v[14:17], v196 offset:11760
	ds_store_b128 v196, v[22:25] offset:6272
	s_waitcnt vmcnt(0) lgkmcnt(1)
	v_mul_f64 v[22:23], v[16:17], v[20:21]
	s_delay_alu instid0(VALU_DEP_1) | instskip(SKIP_1) | instid1(VALU_DEP_1)
	v_fma_f64 v[22:23], v[14:15], v[18:19], -v[22:23]
	v_mul_f64 v[14:15], v[14:15], v[20:21]
	v_fma_f64 v[24:25], v[16:17], v[18:19], v[14:15]
	global_load_b128 v[18:21], v[2:3], off offset:2416
	ds_load_b128 v[14:17], v196 offset:17248
	ds_store_b128 v196, v[22:25] offset:11760
	s_waitcnt vmcnt(0) lgkmcnt(1)
	v_mul_f64 v[22:23], v[16:17], v[20:21]
	s_delay_alu instid0(VALU_DEP_1) | instskip(SKIP_1) | instid1(VALU_DEP_1)
	v_fma_f64 v[22:23], v[14:15], v[18:19], -v[22:23]
	v_mul_f64 v[14:15], v[14:15], v[20:21]
	v_fma_f64 v[24:25], v[16:17], v[18:19], v[14:15]
	global_load_b128 v[18:21], v[6:7], off offset:3808
	ds_load_b128 v[14:17], v196 offset:22736
	ds_store_b128 v196, v[22:25] offset:17248
	s_waitcnt vmcnt(0) lgkmcnt(1)
	v_mul_f64 v[22:23], v[16:17], v[20:21]
	s_delay_alu instid0(VALU_DEP_1) | instskip(SKIP_1) | instid1(VALU_DEP_1)
	v_fma_f64 v[22:23], v[14:15], v[18:19], -v[22:23]
	v_mul_f64 v[14:15], v[14:15], v[20:21]
	v_fma_f64 v[24:25], v[16:17], v[18:19], v[14:15]
	global_load_b128 v[18:21], v[12:13], off offset:1104
	ds_load_b128 v[14:17], v196 offset:28224
	ds_store_b128 v196, v[22:25] offset:22736
	s_waitcnt vmcnt(0) lgkmcnt(1)
	v_mul_f64 v[22:23], v[16:17], v[20:21]
	s_delay_alu instid0(VALU_DEP_1) | instskip(SKIP_1) | instid1(VALU_DEP_1)
	v_fma_f64 v[22:23], v[14:15], v[18:19], -v[22:23]
	v_mul_f64 v[14:15], v[14:15], v[20:21]
	v_fma_f64 v[24:25], v[16:17], v[18:19], v[14:15]
	global_load_b128 v[18:21], v[8:9], off offset:2496
	ds_load_b128 v[14:17], v196 offset:33712
	ds_store_b128 v196, v[22:25] offset:28224
	s_waitcnt vmcnt(0) lgkmcnt(1)
	v_mul_f64 v[22:23], v[16:17], v[20:21]
	s_delay_alu instid0(VALU_DEP_1) | instskip(SKIP_1) | instid1(VALU_DEP_1)
	v_fma_f64 v[22:23], v[14:15], v[18:19], -v[22:23]
	v_mul_f64 v[14:15], v[14:15], v[20:21]
	v_fma_f64 v[24:25], v[16:17], v[18:19], v[14:15]
	global_load_b128 v[18:21], v[10:11], off offset:1568
	ds_load_b128 v[14:17], v196 offset:1568
	ds_store_b128 v196, v[22:25] offset:33712
	s_waitcnt vmcnt(0) lgkmcnt(1)
	v_mul_f64 v[22:23], v[16:17], v[20:21]
	s_delay_alu instid0(VALU_DEP_1) | instskip(SKIP_1) | instid1(VALU_DEP_1)
	v_fma_f64 v[22:23], v[14:15], v[18:19], -v[22:23]
	v_mul_f64 v[14:15], v[14:15], v[20:21]
	v_fma_f64 v[24:25], v[16:17], v[18:19], v[14:15]
	global_load_b128 v[18:21], v[26:27], off offset:416
	ds_load_b128 v[14:17], v196 offset:7056
	ds_store_b128 v196, v[22:25] offset:1568
	s_waitcnt vmcnt(0) lgkmcnt(1)
	v_mul_f64 v[22:23], v[16:17], v[20:21]
	s_delay_alu instid0(VALU_DEP_1) | instskip(SKIP_1) | instid1(VALU_DEP_1)
	v_fma_f64 v[22:23], v[14:15], v[18:19], -v[22:23]
	v_mul_f64 v[14:15], v[14:15], v[20:21]
	v_fma_f64 v[24:25], v[16:17], v[18:19], v[14:15]
	global_load_b128 v[18:21], v[4:5], off offset:1808
	ds_load_b128 v[14:17], v196 offset:12544
	ds_store_b128 v196, v[22:25] offset:7056
	s_waitcnt vmcnt(0) lgkmcnt(1)
	v_mul_f64 v[22:23], v[16:17], v[20:21]
	s_delay_alu instid0(VALU_DEP_1) | instskip(SKIP_1) | instid1(VALU_DEP_1)
	v_fma_f64 v[22:23], v[14:15], v[18:19], -v[22:23]
	v_mul_f64 v[14:15], v[14:15], v[20:21]
	v_fma_f64 v[24:25], v[16:17], v[18:19], v[14:15]
	global_load_b128 v[18:21], v[2:3], off offset:3200
	ds_load_b128 v[14:17], v196 offset:18032
	ds_store_b128 v196, v[22:25] offset:12544
	s_waitcnt vmcnt(0) lgkmcnt(1)
	v_mul_f64 v[22:23], v[16:17], v[20:21]
	s_delay_alu instid0(VALU_DEP_1) | instskip(SKIP_1) | instid1(VALU_DEP_1)
	v_fma_f64 v[22:23], v[14:15], v[18:19], -v[22:23]
	v_mul_f64 v[14:15], v[14:15], v[20:21]
	v_fma_f64 v[24:25], v[16:17], v[18:19], v[14:15]
	global_load_b128 v[18:21], v[28:29], off offset:496
	ds_load_b128 v[14:17], v196 offset:23520
	ds_store_b128 v196, v[22:25] offset:18032
	s_waitcnt vmcnt(0) lgkmcnt(1)
	v_mul_f64 v[22:23], v[16:17], v[20:21]
	s_delay_alu instid0(VALU_DEP_1) | instskip(SKIP_1) | instid1(VALU_DEP_1)
	v_fma_f64 v[22:23], v[14:15], v[18:19], -v[22:23]
	v_mul_f64 v[14:15], v[14:15], v[20:21]
	v_fma_f64 v[24:25], v[16:17], v[18:19], v[14:15]
	global_load_b128 v[18:21], v[12:13], off offset:1888
	ds_load_b128 v[14:17], v196 offset:29008
	ds_store_b128 v196, v[22:25] offset:23520
	s_waitcnt vmcnt(0) lgkmcnt(1)
	v_mul_f64 v[22:23], v[16:17], v[20:21]
	s_delay_alu instid0(VALU_DEP_1) | instskip(SKIP_1) | instid1(VALU_DEP_1)
	v_fma_f64 v[22:23], v[14:15], v[18:19], -v[22:23]
	v_mul_f64 v[14:15], v[14:15], v[20:21]
	v_fma_f64 v[24:25], v[16:17], v[18:19], v[14:15]
	global_load_b128 v[18:21], v[8:9], off offset:3280
	ds_load_b128 v[14:17], v196 offset:34496
	ds_store_b128 v196, v[22:25] offset:29008
	s_waitcnt vmcnt(0) lgkmcnt(1)
	v_mul_f64 v[22:23], v[16:17], v[20:21]
	s_delay_alu instid0(VALU_DEP_1) | instskip(SKIP_1) | instid1(VALU_DEP_1)
	v_fma_f64 v[22:23], v[14:15], v[18:19], -v[22:23]
	v_mul_f64 v[14:15], v[14:15], v[20:21]
	v_fma_f64 v[24:25], v[16:17], v[18:19], v[14:15]
	global_load_b128 v[18:21], v[10:11], off offset:2352
	ds_load_b128 v[14:17], v196 offset:2352
	ds_store_b128 v196, v[22:25] offset:34496
	s_waitcnt vmcnt(0) lgkmcnt(1)
	v_mul_f64 v[22:23], v[16:17], v[20:21]
	s_delay_alu instid0(VALU_DEP_1) | instskip(SKIP_1) | instid1(VALU_DEP_1)
	v_fma_f64 v[22:23], v[14:15], v[18:19], -v[22:23]
	v_mul_f64 v[14:15], v[14:15], v[20:21]
	v_fma_f64 v[24:25], v[16:17], v[18:19], v[14:15]
	global_load_b128 v[18:21], v[26:27], off offset:1200
	ds_load_b128 v[14:17], v196 offset:7840
	ds_store_b128 v196, v[22:25] offset:2352
	s_waitcnt vmcnt(0) lgkmcnt(1)
	v_mul_f64 v[22:23], v[16:17], v[20:21]
	s_delay_alu instid0(VALU_DEP_1) | instskip(SKIP_1) | instid1(VALU_DEP_1)
	v_fma_f64 v[22:23], v[14:15], v[18:19], -v[22:23]
	v_mul_f64 v[14:15], v[14:15], v[20:21]
	v_fma_f64 v[24:25], v[16:17], v[18:19], v[14:15]
	global_load_b128 v[18:21], v[4:5], off offset:2592
	ds_load_b128 v[14:17], v196 offset:13328
	ds_store_b128 v196, v[22:25] offset:7840
	s_waitcnt vmcnt(0) lgkmcnt(1)
	v_mul_f64 v[22:23], v[16:17], v[20:21]
	s_delay_alu instid0(VALU_DEP_1) | instskip(SKIP_1) | instid1(VALU_DEP_1)
	v_fma_f64 v[22:23], v[14:15], v[18:19], -v[22:23]
	v_mul_f64 v[14:15], v[14:15], v[20:21]
	v_fma_f64 v[24:25], v[16:17], v[18:19], v[14:15]
	global_load_b128 v[18:21], v[2:3], off offset:3984
	ds_load_b128 v[14:17], v196 offset:18816
	ds_store_b128 v196, v[22:25] offset:13328
	s_waitcnt vmcnt(0) lgkmcnt(1)
	v_mul_f64 v[22:23], v[16:17], v[20:21]
	s_delay_alu instid0(VALU_DEP_1) | instskip(SKIP_1) | instid1(VALU_DEP_1)
	v_fma_f64 v[22:23], v[14:15], v[18:19], -v[22:23]
	v_mul_f64 v[14:15], v[14:15], v[20:21]
	v_fma_f64 v[24:25], v[16:17], v[18:19], v[14:15]
	global_load_b128 v[18:21], v[28:29], off offset:1280
	ds_load_b128 v[14:17], v196 offset:24304
	ds_store_b128 v196, v[22:25] offset:18816
	s_waitcnt vmcnt(0) lgkmcnt(1)
	v_mul_f64 v[22:23], v[16:17], v[20:21]
	s_delay_alu instid0(VALU_DEP_1) | instskip(SKIP_1) | instid1(VALU_DEP_1)
	v_fma_f64 v[22:23], v[14:15], v[18:19], -v[22:23]
	v_mul_f64 v[14:15], v[14:15], v[20:21]
	v_fma_f64 v[24:25], v[16:17], v[18:19], v[14:15]
	global_load_b128 v[18:21], v[12:13], off offset:2672
	ds_load_b128 v[14:17], v196 offset:29792
	ds_store_b128 v196, v[22:25] offset:24304
	s_waitcnt vmcnt(0) lgkmcnt(1)
	v_mul_f64 v[22:23], v[16:17], v[20:21]
	s_delay_alu instid0(VALU_DEP_1) | instskip(SKIP_1) | instid1(VALU_DEP_1)
	v_fma_f64 v[22:23], v[14:15], v[18:19], -v[22:23]
	v_mul_f64 v[14:15], v[14:15], v[20:21]
	v_fma_f64 v[24:25], v[16:17], v[18:19], v[14:15]
	global_load_b128 v[18:21], v[8:9], off offset:4064
	ds_load_b128 v[14:17], v196 offset:35280
	ds_store_b128 v196, v[22:25] offset:29792
	s_waitcnt vmcnt(0) lgkmcnt(1)
	v_mul_f64 v[22:23], v[16:17], v[20:21]
	s_delay_alu instid0(VALU_DEP_1) | instskip(SKIP_1) | instid1(VALU_DEP_1)
	v_fma_f64 v[22:23], v[14:15], v[18:19], -v[22:23]
	v_mul_f64 v[14:15], v[14:15], v[20:21]
	v_fma_f64 v[24:25], v[16:17], v[18:19], v[14:15]
	global_load_b128 v[18:21], v[10:11], off offset:3136
	ds_load_b128 v[14:17], v196 offset:3136
	ds_store_b128 v196, v[22:25] offset:35280
	s_waitcnt vmcnt(0) lgkmcnt(1)
	v_mul_f64 v[22:23], v[16:17], v[20:21]
	s_delay_alu instid0(VALU_DEP_1) | instskip(SKIP_1) | instid1(VALU_DEP_1)
	v_fma_f64 v[22:23], v[14:15], v[18:19], -v[22:23]
	v_mul_f64 v[14:15], v[14:15], v[20:21]
	v_fma_f64 v[24:25], v[16:17], v[18:19], v[14:15]
	global_load_b128 v[18:21], v[26:27], off offset:1984
	ds_load_b128 v[14:17], v196 offset:8624
	ds_store_b128 v196, v[22:25] offset:3136
	s_waitcnt vmcnt(0) lgkmcnt(1)
	v_mul_f64 v[22:23], v[16:17], v[20:21]
	s_delay_alu instid0(VALU_DEP_1) | instskip(SKIP_1) | instid1(VALU_DEP_1)
	v_fma_f64 v[22:23], v[14:15], v[18:19], -v[22:23]
	v_mul_f64 v[14:15], v[14:15], v[20:21]
	v_fma_f64 v[24:25], v[16:17], v[18:19], v[14:15]
	global_load_b128 v[18:21], v[4:5], off offset:3376
	ds_load_b128 v[14:17], v196 offset:14112
	ds_store_b128 v196, v[22:25] offset:8624
	s_waitcnt vmcnt(0) lgkmcnt(1)
	v_mul_f64 v[4:5], v[16:17], v[20:21]
	s_delay_alu instid0(VALU_DEP_1) | instskip(SKIP_1) | instid1(VALU_DEP_1)
	v_fma_f64 v[22:23], v[14:15], v[18:19], -v[4:5]
	v_mul_f64 v[4:5], v[14:15], v[20:21]
	v_fma_f64 v[24:25], v[16:17], v[18:19], v[4:5]
	global_load_b128 v[18:21], v[6:7], off offset:672
	ds_load_b128 v[14:17], v196 offset:19600
	ds_store_b128 v196, v[22:25] offset:14112
	s_waitcnt vmcnt(0) lgkmcnt(1)
	v_mul_f64 v[4:5], v[16:17], v[20:21]
	s_delay_alu instid0(VALU_DEP_1) | instskip(SKIP_1) | instid1(VALU_DEP_1)
	v_fma_f64 v[22:23], v[14:15], v[18:19], -v[4:5]
	v_mul_f64 v[4:5], v[14:15], v[20:21]
	v_fma_f64 v[24:25], v[16:17], v[18:19], v[4:5]
	global_load_b128 v[18:21], v[28:29], off offset:2064
	ds_load_b128 v[14:17], v196 offset:25088
	ds_store_b128 v196, v[22:25] offset:19600
	s_waitcnt vmcnt(0) lgkmcnt(1)
	v_mul_f64 v[4:5], v[16:17], v[20:21]
	s_delay_alu instid0(VALU_DEP_1) | instskip(SKIP_1) | instid1(VALU_DEP_1)
	v_fma_f64 v[22:23], v[14:15], v[18:19], -v[4:5]
	v_mul_f64 v[4:5], v[14:15], v[20:21]
	v_fma_f64 v[24:25], v[16:17], v[18:19], v[4:5]
	global_load_b128 v[18:21], v[12:13], off offset:3456
	ds_load_b128 v[14:17], v196 offset:30576
	ds_store_b128 v196, v[22:25] offset:25088
	s_waitcnt vmcnt(0) lgkmcnt(1)
	v_mul_f64 v[4:5], v[16:17], v[20:21]
	s_delay_alu instid0(VALU_DEP_1) | instskip(SKIP_1) | instid1(VALU_DEP_1)
	v_fma_f64 v[12:13], v[14:15], v[18:19], -v[4:5]
	v_mul_f64 v[4:5], v[14:15], v[20:21]
	v_fma_f64 v[14:15], v[16:17], v[18:19], v[4:5]
	v_add_co_u32 v4, vcc_lo, 0x12000, v197
	v_add_co_ci_u32_e32 v5, vcc_lo, 0, v30, vcc_lo
	global_load_b128 v[16:19], v[4:5], off offset:752
	ds_store_b128 v196, v[12:15] offset:30576
	ds_load_b128 v[12:15], v196 offset:36064
	s_waitcnt vmcnt(0) lgkmcnt(0)
	v_mul_f64 v[20:21], v[14:15], v[18:19]
	s_delay_alu instid0(VALU_DEP_1) | instskip(SKIP_1) | instid1(VALU_DEP_1)
	v_fma_f64 v[20:21], v[12:13], v[16:17], -v[20:21]
	v_mul_f64 v[12:13], v[12:13], v[18:19]
	v_fma_f64 v[22:23], v[14:15], v[16:17], v[12:13]
	global_load_b128 v[16:19], v[10:11], off offset:3920
	ds_load_b128 v[12:15], v196 offset:3920
	ds_store_b128 v196, v[20:23] offset:36064
	s_waitcnt vmcnt(0) lgkmcnt(1)
	v_mul_f64 v[10:11], v[14:15], v[18:19]
	s_delay_alu instid0(VALU_DEP_1) | instskip(SKIP_1) | instid1(VALU_DEP_1)
	v_fma_f64 v[10:11], v[12:13], v[16:17], -v[10:11]
	v_mul_f64 v[12:13], v[12:13], v[18:19]
	v_fma_f64 v[12:13], v[14:15], v[16:17], v[12:13]
	global_load_b128 v[14:17], v[26:27], off offset:2768
	ds_store_b128 v196, v[10:13] offset:3920
	ds_load_b128 v[10:13], v196 offset:9408
	s_waitcnt vmcnt(0) lgkmcnt(0)
	v_mul_f64 v[18:19], v[12:13], v[16:17]
	s_delay_alu instid0(VALU_DEP_1) | instskip(SKIP_1) | instid1(VALU_DEP_1)
	v_fma_f64 v[18:19], v[10:11], v[14:15], -v[18:19]
	v_mul_f64 v[10:11], v[10:11], v[16:17]
	v_fma_f64 v[20:21], v[12:13], v[14:15], v[10:11]
	global_load_b128 v[14:17], v[2:3], off offset:64
	ds_load_b128 v[10:13], v196 offset:14896
	ds_store_b128 v196, v[18:21] offset:9408
	s_waitcnt vmcnt(0) lgkmcnt(1)
	v_mul_f64 v[18:19], v[12:13], v[16:17]
	s_delay_alu instid0(VALU_DEP_1) | instskip(SKIP_1) | instid1(VALU_DEP_1)
	v_fma_f64 v[18:19], v[10:11], v[14:15], -v[18:19]
	v_mul_f64 v[10:11], v[10:11], v[16:17]
	v_fma_f64 v[20:21], v[12:13], v[14:15], v[10:11]
	global_load_b128 v[14:17], v[6:7], off offset:1456
	ds_load_b128 v[10:13], v196 offset:20384
	ds_store_b128 v196, v[18:21] offset:14896
	;; [unrolled: 9-line block ×8, first 2 shown]
	s_waitcnt vmcnt(0) lgkmcnt(1)
	v_mul_f64 v[14:15], v[12:13], v[2:3]
	v_mul_f64 v[2:3], v[10:11], v[2:3]
	s_delay_alu instid0(VALU_DEP_2) | instskip(NEXT) | instid1(VALU_DEP_2)
	v_fma_f64 v[14:15], v[10:11], v[0:1], -v[14:15]
	v_fma_f64 v[16:17], v[12:13], v[0:1], v[2:3]
	global_load_b128 v[10:13], v[6:7], off offset:2240
	ds_load_b128 v[0:3], v196 offset:21168
	ds_store_b128 v196, v[14:17] offset:15680
	s_waitcnt vmcnt(0) lgkmcnt(1)
	v_mul_f64 v[6:7], v[2:3], v[12:13]
	s_delay_alu instid0(VALU_DEP_1) | instskip(SKIP_1) | instid1(VALU_DEP_1)
	v_fma_f64 v[14:15], v[0:1], v[10:11], -v[6:7]
	v_mul_f64 v[0:1], v[0:1], v[12:13]
	v_fma_f64 v[16:17], v[2:3], v[10:11], v[0:1]
	global_load_b128 v[10:13], v[28:29], off offset:3632
	ds_load_b128 v[0:3], v196 offset:26656
	ds_store_b128 v196, v[14:17] offset:21168
	s_waitcnt vmcnt(0) lgkmcnt(1)
	v_mul_f64 v[6:7], v[2:3], v[12:13]
	s_delay_alu instid0(VALU_DEP_1) | instskip(SKIP_2) | instid1(VALU_DEP_1)
	v_fma_f64 v[14:15], v[0:1], v[10:11], -v[6:7]
	global_load_b128 v[6:9], v[8:9], off offset:928
	v_mul_f64 v[0:1], v[0:1], v[12:13]
	v_fma_f64 v[16:17], v[2:3], v[10:11], v[0:1]
	ds_load_b128 v[0:3], v196 offset:32144
	ds_store_b128 v196, v[14:17] offset:26656
	s_waitcnt vmcnt(0) lgkmcnt(1)
	v_mul_f64 v[10:11], v[2:3], v[8:9]
	s_delay_alu instid0(VALU_DEP_1) | instskip(SKIP_1) | instid1(VALU_DEP_1)
	v_fma_f64 v[10:11], v[0:1], v[6:7], -v[10:11]
	v_mul_f64 v[0:1], v[0:1], v[8:9]
	v_fma_f64 v[12:13], v[2:3], v[6:7], v[0:1]
	global_load_b128 v[4:7], v[4:5], off offset:2320
	ds_load_b128 v[0:3], v196 offset:37632
	ds_store_b128 v196, v[10:13] offset:32144
	s_waitcnt vmcnt(0) lgkmcnt(1)
	v_mul_f64 v[8:9], v[2:3], v[6:7]
	s_delay_alu instid0(VALU_DEP_1) | instskip(SKIP_1) | instid1(VALU_DEP_1)
	v_fma_f64 v[8:9], v[0:1], v[4:5], -v[8:9]
	v_mul_f64 v[0:1], v[0:1], v[6:7]
	v_fma_f64 v[10:11], v[2:3], v[4:5], v[0:1]
	ds_store_b128 v196, v[8:11] offset:37632
	s_waitcnt lgkmcnt(0)
	s_barrier
	buffer_gl0_inv
	ds_load_b128 v[68:71], v196
	ds_load_b128 v[188:191], v196 offset:5488
	ds_load_b128 v[180:183], v196 offset:10976
	;; [unrolled: 1-line block ×48, first 2 shown]
	s_waitcnt lgkmcnt(42)
	v_add_f64 v[197:198], v[188:189], v[192:193]
	v_add_f64 v[188:189], v[188:189], -v[192:193]
	v_add_f64 v[192:193], v[180:181], v[184:185]
	v_add_f64 v[199:200], v[190:191], v[194:195]
	v_add_f64 v[190:191], v[190:191], -v[194:195]
	v_add_f64 v[194:195], v[182:183], v[186:187]
	v_add_f64 v[180:181], v[180:181], -v[184:185]
	v_add_f64 v[182:183], v[182:183], -v[186:187]
	v_add_f64 v[184:185], v[172:173], v[176:177]
	v_add_f64 v[186:187], v[174:175], v[178:179]
	v_add_f64 v[172:173], v[176:177], -v[172:173]
	v_add_f64 v[174:175], v[178:179], -v[174:175]
	s_waitcnt lgkmcnt(0)
	s_barrier
	buffer_gl0_inv
	v_add_f64 v[176:177], v[192:193], v[197:198]
	v_add_f64 v[201:202], v[192:193], -v[197:198]
	v_add_f64 v[178:179], v[194:195], v[199:200]
	v_add_f64 v[203:204], v[194:195], -v[199:200]
	v_add_f64 v[197:198], v[197:198], -v[184:185]
	;; [unrolled: 1-line block ×3, first 2 shown]
	v_add_f64 v[205:206], v[172:173], v[180:181]
	v_add_f64 v[207:208], v[174:175], v[182:183]
	v_add_f64 v[211:212], v[174:175], -v[182:183]
	v_add_f64 v[199:200], v[199:200], -v[186:187]
	;; [unrolled: 1-line block ×8, first 2 shown]
	v_add_f64 v[176:177], v[184:185], v[176:177]
	v_add_f64 v[178:179], v[186:187], v[178:179]
	;; [unrolled: 1-line block ×4, first 2 shown]
	v_mul_f64 v[188:189], v[197:198], s[26:27]
	v_mul_f64 v[197:198], v[192:193], s[8:9]
	;; [unrolled: 1-line block ×8, first 2 shown]
	v_add_f64 v[68:69], v[68:69], v[176:177]
	v_add_f64 v[70:71], v[70:71], v[178:179]
	v_fma_f64 v[192:193], v[192:193], s[8:9], v[188:189]
	v_fma_f64 v[197:198], v[201:202], s[14:15], -v[197:198]
	v_fma_f64 v[182:183], v[182:183], s[4:5], -v[207:208]
	v_fma_f64 v[194:195], v[194:195], s[8:9], v[190:191]
	v_fma_f64 v[199:200], v[203:204], s[14:15], -v[199:200]
	v_fma_f64 v[188:189], v[201:202], s[16:17], -v[188:189]
	;; [unrolled: 1-line block ×3, first 2 shown]
	v_fma_f64 v[201:202], v[172:173], s[18:19], v[205:206]
	v_fma_f64 v[203:204], v[174:175], s[18:19], v[207:208]
	v_fma_f64 v[180:181], v[180:181], s[4:5], -v[205:206]
	v_fma_f64 v[172:173], v[172:173], s[10:11], v[209:210]
	v_fma_f64 v[174:175], v[174:175], s[10:11], v[211:212]
	;; [unrolled: 1-line block ×10, first 2 shown]
	v_add_f64 v[197:198], v[197:198], v[176:177]
	v_add_f64 v[188:189], v[188:189], v[176:177]
	;; [unrolled: 1-line block ×6, first 2 shown]
	v_add_f64 v[180:181], v[197:198], -v[207:208]
	v_add_f64 v[184:185], v[197:198], v[207:208]
	v_add_f64 v[197:198], v[164:165], v[168:169]
	v_add_f64 v[164:165], v[164:165], -v[168:169]
	v_add_f64 v[168:169], v[156:157], v[160:161]
	v_add_f64 v[182:183], v[205:206], v[199:200]
	v_add_f64 v[186:187], v[199:200], -v[205:206]
	v_add_f64 v[199:200], v[166:167], v[170:171]
	v_add_f64 v[166:167], v[166:167], -v[170:171]
	;; [unrolled: 2-line block ×3, first 2 shown]
	v_add_f64 v[158:159], v[158:159], -v[162:163]
	v_add_f64 v[160:161], v[148:149], v[152:153]
	v_add_f64 v[162:163], v[150:151], v[154:155]
	v_add_f64 v[148:149], v[152:153], -v[148:149]
	v_add_f64 v[150:151], v[154:155], -v[150:151]
	;; [unrolled: 1-line block ×3, first 2 shown]
	v_add_f64 v[176:177], v[188:189], v[211:212]
	v_add_f64 v[188:189], v[188:189], -v[211:212]
	v_add_f64 v[194:195], v[201:202], v[194:195]
	v_add_f64 v[172:173], v[192:193], v[203:204]
	v_add_f64 v[178:179], v[190:191], -v[209:210]
	v_add_f64 v[190:191], v[209:210], v[190:191]
	v_add_f64 v[192:193], v[192:193], -v[203:204]
	;; [unrolled: 2-line block ×4, first 2 shown]
	v_add_f64 v[197:198], v[197:198], -v[160:161]
	v_add_f64 v[168:169], v[160:161], -v[168:169]
	v_add_f64 v[205:206], v[148:149], v[156:157]
	v_add_f64 v[207:208], v[150:151], v[158:159]
	v_add_f64 v[211:212], v[150:151], -v[158:159]
	v_add_f64 v[199:200], v[199:200], -v[162:163]
	;; [unrolled: 1-line block ×8, first 2 shown]
	v_add_f64 v[152:153], v[160:161], v[152:153]
	v_add_f64 v[154:155], v[162:163], v[154:155]
	;; [unrolled: 1-line block ×4, first 2 shown]
	v_mul_f64 v[164:165], v[197:198], s[26:27]
	v_mul_f64 v[197:198], v[168:169], s[8:9]
	;; [unrolled: 1-line block ×8, first 2 shown]
	v_add_f64 v[64:65], v[64:65], v[152:153]
	v_add_f64 v[66:67], v[66:67], v[154:155]
	v_fma_f64 v[168:169], v[168:169], s[8:9], v[164:165]
	v_fma_f64 v[197:198], v[201:202], s[14:15], -v[197:198]
	v_fma_f64 v[158:159], v[158:159], s[4:5], -v[207:208]
	v_fma_f64 v[170:171], v[170:171], s[8:9], v[166:167]
	v_fma_f64 v[199:200], v[203:204], s[14:15], -v[199:200]
	v_fma_f64 v[164:165], v[201:202], s[16:17], -v[164:165]
	;; [unrolled: 1-line block ×3, first 2 shown]
	v_fma_f64 v[201:202], v[148:149], s[18:19], v[205:206]
	v_fma_f64 v[203:204], v[150:151], s[18:19], v[207:208]
	v_fma_f64 v[156:157], v[156:157], s[4:5], -v[205:206]
	v_fma_f64 v[148:149], v[148:149], s[10:11], v[209:210]
	v_fma_f64 v[150:151], v[150:151], s[10:11], v[211:212]
	;; [unrolled: 1-line block ×10, first 2 shown]
	v_add_f64 v[197:198], v[197:198], v[152:153]
	v_add_f64 v[164:165], v[164:165], v[152:153]
	;; [unrolled: 1-line block ×6, first 2 shown]
	v_add_f64 v[156:157], v[197:198], -v[207:208]
	v_add_f64 v[160:161], v[197:198], v[207:208]
	v_add_f64 v[197:198], v[140:141], v[144:145]
	v_add_f64 v[140:141], v[140:141], -v[144:145]
	v_add_f64 v[144:145], v[132:133], v[136:137]
	v_add_f64 v[158:159], v[205:206], v[199:200]
	v_add_f64 v[162:163], v[199:200], -v[205:206]
	v_add_f64 v[199:200], v[142:143], v[146:147]
	v_add_f64 v[142:143], v[142:143], -v[146:147]
	v_add_f64 v[146:147], v[134:135], v[138:139]
	v_add_f64 v[132:133], v[132:133], -v[136:137]
	v_add_f64 v[134:135], v[134:135], -v[138:139]
	v_add_f64 v[136:137], v[124:125], v[128:129]
	v_add_f64 v[138:139], v[126:127], v[130:131]
	v_add_f64 v[124:125], v[128:129], -v[124:125]
	v_add_f64 v[126:127], v[130:131], -v[126:127]
	;; [unrolled: 1-line block ×3, first 2 shown]
	v_add_f64 v[152:153], v[164:165], v[211:212]
	v_add_f64 v[164:165], v[164:165], -v[211:212]
	v_add_f64 v[170:171], v[201:202], v[170:171]
	v_add_f64 v[148:149], v[168:169], v[203:204]
	v_add_f64 v[154:155], v[166:167], -v[209:210]
	v_add_f64 v[166:167], v[209:210], v[166:167]
	v_add_f64 v[168:169], v[168:169], -v[203:204]
	;; [unrolled: 2-line block ×4, first 2 shown]
	v_add_f64 v[197:198], v[197:198], -v[136:137]
	v_add_f64 v[144:145], v[136:137], -v[144:145]
	v_add_f64 v[205:206], v[124:125], v[132:133]
	v_add_f64 v[207:208], v[126:127], v[134:135]
	v_add_f64 v[211:212], v[126:127], -v[134:135]
	v_add_f64 v[199:200], v[199:200], -v[138:139]
	;; [unrolled: 1-line block ×8, first 2 shown]
	v_add_f64 v[128:129], v[136:137], v[128:129]
	v_add_f64 v[130:131], v[138:139], v[130:131]
	;; [unrolled: 1-line block ×4, first 2 shown]
	v_mul_f64 v[140:141], v[197:198], s[26:27]
	v_mul_f64 v[197:198], v[144:145], s[8:9]
	;; [unrolled: 1-line block ×8, first 2 shown]
	v_add_f64 v[60:61], v[60:61], v[128:129]
	v_add_f64 v[62:63], v[62:63], v[130:131]
	v_fma_f64 v[144:145], v[144:145], s[8:9], v[140:141]
	v_fma_f64 v[197:198], v[201:202], s[14:15], -v[197:198]
	v_fma_f64 v[134:135], v[134:135], s[4:5], -v[207:208]
	v_fma_f64 v[146:147], v[146:147], s[8:9], v[142:143]
	v_fma_f64 v[199:200], v[203:204], s[14:15], -v[199:200]
	v_fma_f64 v[140:141], v[201:202], s[16:17], -v[140:141]
	;; [unrolled: 1-line block ×3, first 2 shown]
	v_fma_f64 v[201:202], v[124:125], s[18:19], v[205:206]
	v_fma_f64 v[203:204], v[126:127], s[18:19], v[207:208]
	v_fma_f64 v[132:133], v[132:133], s[4:5], -v[205:206]
	v_fma_f64 v[124:125], v[124:125], s[10:11], v[209:210]
	v_fma_f64 v[126:127], v[126:127], s[10:11], v[211:212]
	;; [unrolled: 1-line block ×10, first 2 shown]
	v_add_f64 v[197:198], v[197:198], v[128:129]
	v_add_f64 v[140:141], v[140:141], v[128:129]
	;; [unrolled: 1-line block ×6, first 2 shown]
	v_add_f64 v[132:133], v[197:198], -v[207:208]
	v_add_f64 v[136:137], v[197:198], v[207:208]
	v_add_f64 v[197:198], v[116:117], v[120:121]
	v_add_f64 v[116:117], v[116:117], -v[120:121]
	v_add_f64 v[120:121], v[108:109], v[112:113]
	v_add_f64 v[134:135], v[205:206], v[199:200]
	v_add_f64 v[138:139], v[199:200], -v[205:206]
	v_add_f64 v[199:200], v[118:119], v[122:123]
	v_add_f64 v[118:119], v[118:119], -v[122:123]
	;; [unrolled: 2-line block ×3, first 2 shown]
	v_add_f64 v[110:111], v[110:111], -v[114:115]
	v_add_f64 v[112:113], v[100:101], v[104:105]
	v_add_f64 v[114:115], v[102:103], v[106:107]
	v_add_f64 v[100:101], v[104:105], -v[100:101]
	v_add_f64 v[102:103], v[106:107], -v[102:103]
	;; [unrolled: 1-line block ×3, first 2 shown]
	v_add_f64 v[128:129], v[140:141], v[211:212]
	v_add_f64 v[140:141], v[140:141], -v[211:212]
	v_add_f64 v[146:147], v[201:202], v[146:147]
	v_add_f64 v[124:125], v[144:145], v[203:204]
	v_add_f64 v[130:131], v[142:143], -v[209:210]
	v_add_f64 v[142:143], v[209:210], v[142:143]
	v_add_f64 v[144:145], v[144:145], -v[203:204]
	;; [unrolled: 2-line block ×4, first 2 shown]
	v_add_f64 v[197:198], v[197:198], -v[112:113]
	v_add_f64 v[120:121], v[112:113], -v[120:121]
	v_add_f64 v[205:206], v[100:101], v[108:109]
	v_add_f64 v[207:208], v[102:103], v[110:111]
	v_add_f64 v[211:212], v[102:103], -v[110:111]
	v_add_f64 v[199:200], v[199:200], -v[114:115]
	;; [unrolled: 1-line block ×8, first 2 shown]
	v_add_f64 v[104:105], v[112:113], v[104:105]
	v_add_f64 v[106:107], v[114:115], v[106:107]
	;; [unrolled: 1-line block ×4, first 2 shown]
	v_mul_f64 v[116:117], v[197:198], s[26:27]
	v_mul_f64 v[197:198], v[120:121], s[8:9]
	;; [unrolled: 1-line block ×8, first 2 shown]
	v_add_f64 v[56:57], v[56:57], v[104:105]
	v_add_f64 v[58:59], v[58:59], v[106:107]
	v_fma_f64 v[120:121], v[120:121], s[8:9], v[116:117]
	v_fma_f64 v[197:198], v[201:202], s[14:15], -v[197:198]
	v_fma_f64 v[110:111], v[110:111], s[4:5], -v[207:208]
	v_fma_f64 v[122:123], v[122:123], s[8:9], v[118:119]
	v_fma_f64 v[199:200], v[203:204], s[14:15], -v[199:200]
	v_fma_f64 v[116:117], v[201:202], s[16:17], -v[116:117]
	;; [unrolled: 1-line block ×3, first 2 shown]
	v_fma_f64 v[201:202], v[100:101], s[18:19], v[205:206]
	v_fma_f64 v[203:204], v[102:103], s[18:19], v[207:208]
	v_fma_f64 v[108:109], v[108:109], s[4:5], -v[205:206]
	v_fma_f64 v[100:101], v[100:101], s[10:11], v[209:210]
	v_fma_f64 v[102:103], v[102:103], s[10:11], v[211:212]
	;; [unrolled: 1-line block ×10, first 2 shown]
	v_add_f64 v[197:198], v[197:198], v[104:105]
	v_add_f64 v[116:117], v[116:117], v[104:105]
	;; [unrolled: 1-line block ×6, first 2 shown]
	v_add_f64 v[108:109], v[197:198], -v[207:208]
	v_add_f64 v[112:113], v[197:198], v[207:208]
	v_add_f64 v[197:198], v[92:93], v[96:97]
	v_add_f64 v[92:93], v[92:93], -v[96:97]
	v_add_f64 v[96:97], v[84:85], v[88:89]
	v_add_f64 v[110:111], v[205:206], v[199:200]
	v_add_f64 v[114:115], v[199:200], -v[205:206]
	v_add_f64 v[199:200], v[94:95], v[98:99]
	v_add_f64 v[94:95], v[94:95], -v[98:99]
	;; [unrolled: 2-line block ×3, first 2 shown]
	v_add_f64 v[86:87], v[86:87], -v[90:91]
	v_add_f64 v[88:89], v[76:77], v[80:81]
	v_add_f64 v[90:91], v[78:79], v[82:83]
	v_add_f64 v[76:77], v[80:81], -v[76:77]
	v_add_f64 v[78:79], v[82:83], -v[78:79]
	;; [unrolled: 1-line block ×3, first 2 shown]
	v_add_f64 v[104:105], v[116:117], v[211:212]
	v_add_f64 v[116:117], v[116:117], -v[211:212]
	v_add_f64 v[122:123], v[201:202], v[122:123]
	v_add_f64 v[100:101], v[120:121], v[203:204]
	v_add_f64 v[106:107], v[118:119], -v[209:210]
	v_add_f64 v[118:119], v[209:210], v[118:119]
	v_add_f64 v[120:121], v[120:121], -v[203:204]
	v_add_f64 v[80:81], v[96:97], v[197:198]
	v_add_f64 v[201:202], v[96:97], -v[197:198]
	v_add_f64 v[82:83], v[98:99], v[199:200]
	v_add_f64 v[203:204], v[98:99], -v[199:200]
	v_add_f64 v[197:198], v[197:198], -v[88:89]
	v_add_f64 v[96:97], v[88:89], -v[96:97]
	v_add_f64 v[205:206], v[76:77], v[84:85]
	v_add_f64 v[207:208], v[78:79], v[86:87]
	v_add_f64 v[211:212], v[78:79], -v[86:87]
	v_add_f64 v[199:200], v[199:200], -v[90:91]
	;; [unrolled: 1-line block ×8, first 2 shown]
	v_add_f64 v[80:81], v[88:89], v[80:81]
	v_add_f64 v[82:83], v[90:91], v[82:83]
	;; [unrolled: 1-line block ×4, first 2 shown]
	v_mul_f64 v[92:93], v[197:198], s[26:27]
	v_mul_f64 v[197:198], v[96:97], s[8:9]
	;; [unrolled: 1-line block ×8, first 2 shown]
	v_add_f64 v[48:49], v[48:49], v[80:81]
	v_add_f64 v[50:51], v[50:51], v[82:83]
	v_fma_f64 v[96:97], v[96:97], s[8:9], v[92:93]
	v_fma_f64 v[197:198], v[201:202], s[14:15], -v[197:198]
	v_fma_f64 v[86:87], v[86:87], s[4:5], -v[207:208]
	v_fma_f64 v[98:99], v[98:99], s[8:9], v[94:95]
	v_fma_f64 v[199:200], v[203:204], s[14:15], -v[199:200]
	v_fma_f64 v[92:93], v[201:202], s[16:17], -v[92:93]
	;; [unrolled: 1-line block ×3, first 2 shown]
	v_fma_f64 v[201:202], v[76:77], s[18:19], v[205:206]
	v_fma_f64 v[203:204], v[78:79], s[18:19], v[207:208]
	v_fma_f64 v[84:85], v[84:85], s[4:5], -v[205:206]
	v_fma_f64 v[76:77], v[76:77], s[10:11], v[209:210]
	v_fma_f64 v[78:79], v[78:79], s[10:11], v[211:212]
	;; [unrolled: 1-line block ×10, first 2 shown]
	v_add_f64 v[197:198], v[197:198], v[80:81]
	v_add_f64 v[92:93], v[92:93], v[80:81]
	;; [unrolled: 1-line block ×6, first 2 shown]
	v_add_f64 v[84:85], v[197:198], -v[207:208]
	v_add_f64 v[88:89], v[197:198], v[207:208]
	v_add_f64 v[197:198], v[4:5], v[0:1]
	v_add_f64 v[0:1], v[4:5], -v[0:1]
	v_add_f64 v[4:5], v[12:13], v[8:9]
	v_add_f64 v[86:87], v[205:206], v[199:200]
	v_add_f64 v[90:91], v[199:200], -v[205:206]
	v_add_f64 v[199:200], v[6:7], v[2:3]
	v_add_f64 v[2:3], v[6:7], -v[2:3]
	;; [unrolled: 2-line block ×3, first 2 shown]
	v_add_f64 v[10:11], v[14:15], -v[10:11]
	v_add_f64 v[12:13], v[20:21], v[16:17]
	v_add_f64 v[14:15], v[22:23], v[18:19]
	v_add_f64 v[16:17], v[16:17], -v[20:21]
	v_add_f64 v[18:19], v[18:19], -v[22:23]
	;; [unrolled: 1-line block ×3, first 2 shown]
	v_add_f64 v[80:81], v[92:93], v[211:212]
	v_add_f64 v[92:93], v[92:93], -v[211:212]
	v_add_f64 v[98:99], v[201:202], v[98:99]
	v_add_f64 v[76:77], v[96:97], v[203:204]
	v_add_f64 v[82:83], v[94:95], -v[209:210]
	v_add_f64 v[94:95], v[209:210], v[94:95]
	v_add_f64 v[96:97], v[96:97], -v[203:204]
	;; [unrolled: 2-line block ×4, first 2 shown]
	v_add_f64 v[197:198], v[197:198], -v[12:13]
	v_add_f64 v[4:5], v[12:13], -v[4:5]
	v_add_f64 v[205:206], v[16:17], v[8:9]
	v_add_f64 v[207:208], v[18:19], v[10:11]
	v_add_f64 v[211:212], v[18:19], -v[10:11]
	v_add_f64 v[199:200], v[199:200], -v[14:15]
	;; [unrolled: 1-line block ×8, first 2 shown]
	v_add_f64 v[12:13], v[12:13], v[20:21]
	v_add_f64 v[14:15], v[14:15], v[22:23]
	;; [unrolled: 1-line block ×4, first 2 shown]
	v_mul_f64 v[207:208], v[211:212], s[22:23]
	v_mul_f64 v[205:206], v[209:210], s[22:23]
	;; [unrolled: 1-line block ×4, first 2 shown]
	v_add_f64 v[0:1], v[52:53], v[12:13]
	v_mul_f64 v[52:53], v[197:198], s[26:27]
	v_mul_f64 v[197:198], v[4:5], s[8:9]
	v_add_f64 v[2:3], v[54:55], v[14:15]
	v_mul_f64 v[54:55], v[199:200], s[26:27]
	v_mul_f64 v[199:200], v[6:7], s[8:9]
	v_fma_f64 v[10:11], v[10:11], s[4:5], -v[207:208]
	v_fma_f64 v[8:9], v[8:9], s[4:5], -v[205:206]
	v_fma_f64 v[12:13], v[12:13], s[20:21], v[0:1]
	v_fma_f64 v[4:5], v[4:5], s[8:9], v[52:53]
	v_fma_f64 v[197:198], v[201:202], s[14:15], -v[197:198]
	v_fma_f64 v[52:53], v[201:202], s[16:17], -v[52:53]
	v_fma_f64 v[201:202], v[16:17], s[18:19], v[205:206]
	v_fma_f64 v[14:15], v[14:15], s[20:21], v[2:3]
	v_fma_f64 v[16:17], v[16:17], s[10:11], v[209:210]
	v_fma_f64 v[199:200], v[203:204], s[14:15], -v[199:200]
	v_fma_f64 v[6:7], v[6:7], s[8:9], v[54:55]
	v_fma_f64 v[54:55], v[203:204], s[16:17], -v[54:55]
	v_fma_f64 v[203:204], v[18:19], s[18:19], v[207:208]
	v_fma_f64 v[18:19], v[18:19], s[10:11], v[211:212]
	;; [unrolled: 1-line block ×4, first 2 shown]
	v_add_f64 v[4:5], v[4:5], v[12:13]
	v_add_f64 v[197:198], v[197:198], v[12:13]
	;; [unrolled: 1-line block ×3, first 2 shown]
	v_fma_f64 v[201:202], v[20:21], s[2:3], v[201:202]
	v_fma_f64 v[209:210], v[20:21], s[2:3], v[16:17]
	v_add_f64 v[199:200], v[199:200], v[14:15]
	v_add_f64 v[6:7], v[6:7], v[14:15]
	;; [unrolled: 1-line block ×3, first 2 shown]
	v_fma_f64 v[203:204], v[22:23], s[2:3], v[203:204]
	v_fma_f64 v[211:212], v[22:23], s[2:3], v[18:19]
	v_add_f64 v[16:17], v[197:198], -v[10:11]
	v_add_f64 v[12:13], v[197:198], v[10:11]
	v_add_f64 v[197:198], v[44:45], v[24:25]
	v_add_f64 v[24:25], v[44:45], -v[24:25]
	v_add_f64 v[44:45], v[28:29], v[36:37]
	v_add_f64 v[18:19], v[8:9], v[199:200]
	v_add_f64 v[14:15], v[199:200], -v[8:9]
	v_add_f64 v[199:200], v[46:47], v[26:27]
	v_add_f64 v[26:27], v[46:47], -v[26:27]
	;; [unrolled: 2-line block ×3, first 2 shown]
	v_add_f64 v[30:31], v[30:31], -v[38:39]
	v_add_f64 v[36:37], v[40:41], v[32:33]
	v_add_f64 v[38:39], v[42:43], v[34:35]
	v_add_f64 v[32:33], v[32:33], -v[40:41]
	v_add_f64 v[34:35], v[34:35], -v[42:43]
	;; [unrolled: 1-line block ×3, first 2 shown]
	v_add_f64 v[20:21], v[205:206], v[211:212]
	v_add_f64 v[22:23], v[207:208], -v[209:210]
	v_add_f64 v[8:9], v[205:206], -v[211:212]
	v_add_f64 v[10:11], v[209:210], v[207:208]
	v_add_f64 v[6:7], v[201:202], v[6:7]
	;; [unrolled: 1-line block ×3, first 2 shown]
	v_add_f64 v[4:5], v[4:5], -v[203:204]
	v_add_f64 v[40:41], v[44:45], v[197:198]
	v_add_f64 v[201:202], v[44:45], -v[197:198]
	v_add_f64 v[42:43], v[46:47], v[199:200]
	v_add_f64 v[203:204], v[46:47], -v[199:200]
	v_add_f64 v[197:198], v[197:198], -v[36:37]
	v_add_f64 v[44:45], v[36:37], -v[44:45]
	v_add_f64 v[205:206], v[32:33], v[28:29]
	v_add_f64 v[207:208], v[34:35], v[30:31]
	v_add_f64 v[211:212], v[34:35], -v[30:31]
	v_add_f64 v[199:200], v[199:200], -v[38:39]
	;; [unrolled: 1-line block ×8, first 2 shown]
	v_add_f64 v[36:37], v[36:37], v[40:41]
	v_add_f64 v[38:39], v[38:39], v[42:43]
	;; [unrolled: 1-line block ×4, first 2 shown]
	v_mul_f64 v[207:208], v[211:212], s[22:23]
	v_mul_f64 v[205:206], v[209:210], s[22:23]
	;; [unrolled: 1-line block ×4, first 2 shown]
	v_add_f64 v[24:25], v[72:73], v[36:37]
	v_mul_f64 v[72:73], v[197:198], s[26:27]
	v_mul_f64 v[197:198], v[44:45], s[8:9]
	v_add_f64 v[26:27], v[74:75], v[38:39]
	v_mul_f64 v[74:75], v[199:200], s[26:27]
	v_mul_f64 v[199:200], v[46:47], s[8:9]
	v_fma_f64 v[30:31], v[30:31], s[4:5], -v[207:208]
	v_fma_f64 v[28:29], v[28:29], s[4:5], -v[205:206]
	v_fma_f64 v[36:37], v[36:37], s[20:21], v[24:25]
	v_fma_f64 v[44:45], v[44:45], s[8:9], v[72:73]
	v_fma_f64 v[197:198], v[201:202], s[14:15], -v[197:198]
	v_fma_f64 v[72:73], v[201:202], s[16:17], -v[72:73]
	v_fma_f64 v[201:202], v[32:33], s[18:19], v[205:206]
	v_fma_f64 v[32:33], v[32:33], s[10:11], v[209:210]
	;; [unrolled: 1-line block ×4, first 2 shown]
	v_fma_f64 v[199:200], v[203:204], s[14:15], -v[199:200]
	v_fma_f64 v[74:75], v[203:204], s[16:17], -v[74:75]
	v_fma_f64 v[203:204], v[34:35], s[18:19], v[207:208]
	v_fma_f64 v[34:35], v[34:35], s[10:11], v[211:212]
	;; [unrolled: 1-line block ×4, first 2 shown]
	v_add_f64 v[205:206], v[44:45], v[36:37]
	v_add_f64 v[197:198], v[197:198], v[36:37]
	;; [unrolled: 1-line block ×3, first 2 shown]
	v_fma_f64 v[201:202], v[40:41], s[2:3], v[201:202]
	v_fma_f64 v[213:214], v[40:41], s[2:3], v[32:33]
	v_add_f64 v[207:208], v[46:47], v[38:39]
	v_add_f64 v[199:200], v[199:200], v[38:39]
	;; [unrolled: 1-line block ×3, first 2 shown]
	v_fma_f64 v[203:204], v[42:43], s[2:3], v[203:204]
	v_fma_f64 v[32:33], v[42:43], s[2:3], v[34:35]
	v_add_f64 v[40:41], v[197:198], -v[30:31]
	v_add_f64 v[36:37], v[197:198], v[30:31]
	scratch_load_b32 v197, off, off offset:2748 ; 4-byte Folded Reload
	s_waitcnt vmcnt(0)
	ds_store_b128 v197, v[68:71]
	ds_store_b128 v197, v[172:175] offset:16
	ds_store_b128 v197, v[176:179] offset:32
	ds_store_b128 v197, v[180:183] offset:48
	ds_store_b128 v197, v[184:187] offset:64
	ds_store_b128 v197, v[188:191] offset:80
	ds_store_b128 v197, v[192:195] offset:96
	scratch_load_b32 v68, off, off offset:2740 ; 4-byte Folded Reload
	s_waitcnt vmcnt(0)
	ds_store_b128 v68, v[64:67]
	ds_store_b128 v68, v[148:151] offset:16
	ds_store_b128 v68, v[152:155] offset:32
	ds_store_b128 v68, v[156:159] offset:48
	ds_store_b128 v68, v[160:163] offset:64
	ds_store_b128 v68, v[164:167] offset:80
	ds_store_b128 v68, v[168:171] offset:96
	;; [unrolled: 9-line block ×6, first 2 shown]
	scratch_load_b32 v0, off, off offset:1164 ; 4-byte Folded Reload
	v_add_f64 v[72:73], v[205:206], v[203:204]
	v_add_f64 v[74:75], v[207:208], -v[201:202]
	v_add_f64 v[44:45], v[209:210], v[32:33]
	v_add_f64 v[46:47], v[211:212], -v[213:214]
	;; [unrolled: 2-line block ×3, first 2 shown]
	v_add_f64 v[32:33], v[209:210], -v[32:33]
	v_add_f64 v[34:35], v[213:214], v[211:212]
	v_add_f64 v[28:29], v[205:206], -v[203:204]
	v_add_f64 v[30:31], v[201:202], v[207:208]
	s_waitcnt vmcnt(0)
	ds_store_b128 v0, v[24:27]
	ds_store_b128 v0, v[72:75] offset:16
	ds_store_b128 v0, v[44:47] offset:32
	;; [unrolled: 1-line block ×6, first 2 shown]
	s_waitcnt lgkmcnt(0)
	s_barrier
	buffer_gl0_inv
	ds_load_b128 v[24:27], v196
	ds_load_b128 v[192:195], v196 offset:5488
	ds_load_b128 v[188:191], v196 offset:10976
	ds_load_b128 v[184:187], v196 offset:16464
	ds_load_b128 v[180:183], v196 offset:21952
	ds_load_b128 v[176:179], v196 offset:27440
	ds_load_b128 v[168:171], v196 offset:32928
	ds_load_b128 v[20:23], v196 offset:784
	ds_load_b128 v[172:175], v196 offset:6272
	ds_load_b128 v[164:167], v196 offset:11760
	ds_load_b128 v[160:163], v196 offset:17248
	ds_load_b128 v[156:159], v196 offset:22736
	ds_load_b128 v[152:155], v196 offset:28224
	ds_load_b128 v[148:151], v196 offset:33712
	ds_load_b128 v[16:19], v196 offset:1568
	ds_load_b128 v[144:147], v196 offset:7056
	ds_load_b128 v[140:143], v196 offset:12544
	ds_load_b128 v[136:139], v196 offset:18032
	ds_load_b128 v[132:135], v196 offset:23520
	ds_load_b128 v[128:131], v196 offset:29008
	ds_load_b128 v[124:127], v196 offset:34496
	ds_load_b128 v[199:202], v196 offset:2352
	ds_load_b128 v[120:123], v196 offset:7840
	ds_load_b128 v[116:119], v196 offset:13328
	ds_load_b128 v[112:115], v196 offset:18816
	ds_load_b128 v[108:111], v196 offset:24304
	ds_load_b128 v[104:107], v196 offset:29792
	ds_load_b128 v[100:103], v196 offset:35280
	ds_load_b128 v[210:213], v196 offset:3136
	ds_load_b128 v[96:99], v196 offset:8624
	ds_load_b128 v[92:95], v196 offset:14112
	ds_load_b128 v[88:91], v196 offset:19600
	ds_load_b128 v[84:87], v196 offset:25088
	ds_load_b128 v[80:83], v196 offset:30576
	ds_load_b128 v[76:79], v196 offset:36064
	ds_load_b128 v[206:209], v196 offset:3920
	ds_load_b128 v[72:75], v196 offset:9408
	ds_load_b128 v[68:71], v196 offset:14896
	ds_load_b128 v[64:67], v196 offset:20384
	ds_load_b128 v[60:63], v196 offset:25872
	ds_load_b128 v[56:59], v196 offset:31360
	ds_load_b128 v[52:55], v196 offset:36848
	ds_load_b128 v[220:223], v196 offset:4704
	ds_load_b128 v[48:51], v196 offset:10192
	ds_load_b128 v[44:47], v196 offset:15680
	ds_load_b128 v[40:43], v196 offset:21168
	ds_load_b128 v[36:39], v196 offset:26656
	ds_load_b128 v[32:35], v196 offset:32144
	ds_load_b128 v[28:31], v196 offset:37632
	s_clause 0x2
	scratch_load_b128 v[2:5], off, off offset:1448
	scratch_load_b128 v[6:9], off, off offset:1464
	;; [unrolled: 1-line block ×3, first 2 shown]
	s_waitcnt vmcnt(2) lgkmcnt(47)
	v_mul_f64 v[0:1], v[4:5], v[194:195]
	s_delay_alu instid0(VALU_DEP_1) | instskip(SKIP_3) | instid1(VALU_DEP_2)
	v_fma_f64 v[197:198], v[2:3], v[192:193], v[0:1]
	v_mul_f64 v[0:1], v[4:5], v[192:193]
	s_waitcnt vmcnt(1) lgkmcnt(46)
	v_mul_f64 v[4:5], v[8:9], v[188:189]
	v_fma_f64 v[0:1], v[2:3], v[194:195], -v[0:1]
	v_mul_f64 v[2:3], v[8:9], v[190:191]
	s_delay_alu instid0(VALU_DEP_3) | instskip(SKIP_2) | instid1(VALU_DEP_3)
	v_fma_f64 v[10:11], v[6:7], v[190:191], -v[4:5]
	s_waitcnt vmcnt(0) lgkmcnt(45)
	v_mul_f64 v[4:5], v[14:15], v[186:187]
	v_fma_f64 v[2:3], v[6:7], v[188:189], v[2:3]
	v_mul_f64 v[6:7], v[14:15], v[184:185]
	s_delay_alu instid0(VALU_DEP_3) | instskip(NEXT) | instid1(VALU_DEP_2)
	v_fma_f64 v[4:5], v[12:13], v[184:185], v[4:5]
	v_fma_f64 v[184:185], v[12:13], v[186:187], -v[6:7]
	scratch_load_b128 v[12:15], off, off offset:1496 ; 16-byte Folded Reload
	s_waitcnt vmcnt(0) lgkmcnt(44)
	v_mul_f64 v[6:7], v[14:15], v[182:183]
	s_delay_alu instid0(VALU_DEP_1) | instskip(SKIP_1) | instid1(VALU_DEP_1)
	v_fma_f64 v[186:187], v[12:13], v[180:181], v[6:7]
	v_mul_f64 v[6:7], v[14:15], v[180:181]
	v_fma_f64 v[180:181], v[12:13], v[182:183], -v[6:7]
	scratch_load_b128 v[12:15], off, off offset:1580 ; 16-byte Folded Reload
	s_waitcnt vmcnt(0) lgkmcnt(43)
	v_mul_f64 v[6:7], v[14:15], v[178:179]
	s_delay_alu instid0(VALU_DEP_1) | instskip(SKIP_1) | instid1(VALU_DEP_1)
	v_fma_f64 v[182:183], v[12:13], v[176:177], v[6:7]
	v_mul_f64 v[6:7], v[14:15], v[176:177]
	;; [unrolled: 7-line block ×11, first 2 shown]
	v_fma_f64 v[170:171], v[144:145], v[142:143], -v[12:13]
	scratch_load_b128 v[140:143], off, off offset:2068 ; 16-byte Folded Reload
	s_waitcnt vmcnt(0) lgkmcnt(31)
	v_mul_f64 v[12:13], v[142:143], v[138:139]
	v_mul_f64 v[14:15], v[142:143], v[136:137]
	s_delay_alu instid0(VALU_DEP_2) | instskip(NEXT) | instid1(VALU_DEP_2)
	v_fma_f64 v[12:13], v[140:141], v[136:137], v[12:13]
	v_fma_f64 v[136:137], v[140:141], v[138:139], -v[14:15]
	scratch_load_b128 v[140:143], off, off offset:2084 ; 16-byte Folded Reload
	s_waitcnt vmcnt(0) lgkmcnt(30)
	v_mul_f64 v[14:15], v[142:143], v[134:135]
	s_delay_alu instid0(VALU_DEP_1) | instskip(SKIP_1) | instid1(VALU_DEP_1)
	v_fma_f64 v[138:139], v[140:141], v[132:133], v[14:15]
	v_mul_f64 v[14:15], v[142:143], v[132:133]
	v_fma_f64 v[132:133], v[140:141], v[134:135], -v[14:15]
	scratch_load_b128 v[140:143], off, off offset:2116 ; 16-byte Folded Reload
	s_waitcnt vmcnt(0) lgkmcnt(29)
	v_mul_f64 v[14:15], v[142:143], v[130:131]
	s_delay_alu instid0(VALU_DEP_1) | instskip(SKIP_1) | instid1(VALU_DEP_1)
	v_fma_f64 v[134:135], v[140:141], v[128:129], v[14:15]
	v_mul_f64 v[14:15], v[142:143], v[128:129]
	;; [unrolled: 7-line block ×18, first 2 shown]
	v_fma_f64 v[250:251], v[70:71], v[66:67], -v[64:65]
	s_clause 0x1
	scratch_load_b128 v[66:69], off, off offset:2576
	scratch_load_b128 v[70:73], off, off offset:2608
	s_waitcnt vmcnt(1) lgkmcnt(9)
	v_mul_f64 v[64:65], v[68:69], v[62:63]
	s_delay_alu instid0(VALU_DEP_1) | instskip(SKIP_1) | instid1(VALU_DEP_1)
	v_fma_f64 v[252:253], v[66:67], v[60:61], v[64:65]
	v_mul_f64 v[60:61], v[68:69], v[60:61]
	v_fma_f64 v[254:255], v[66:67], v[62:63], -v[60:61]
	scratch_load_b128 v[62:65], off, off offset:2592 ; 16-byte Folded Reload
	s_waitcnt vmcnt(0) lgkmcnt(8)
	v_mul_f64 v[60:61], v[64:65], v[58:59]
	s_delay_alu instid0(VALU_DEP_1) | instskip(SKIP_1) | instid1(VALU_DEP_1)
	v_fma_f64 v[60:61], v[62:63], v[56:57], v[60:61]
	v_mul_f64 v[56:57], v[64:65], v[56:57]
	v_fma_f64 v[68:69], v[62:63], v[58:59], -v[56:57]
	s_waitcnt lgkmcnt(7)
	v_mul_f64 v[56:57], v[72:73], v[54:55]
	s_delay_alu instid0(VALU_DEP_1) | instskip(SKIP_3) | instid1(VALU_DEP_2)
	v_fma_f64 v[64:65], v[70:71], v[52:53], v[56:57]
	scratch_load_b128 v[56:59], off, off offset:2632 ; 16-byte Folded Reload
	v_mul_f64 v[52:53], v[72:73], v[52:53]
	v_add_f64 v[72:73], v[180:181], -v[184:185]
	v_fma_f64 v[52:53], v[70:71], v[54:55], -v[52:53]
	s_waitcnt vmcnt(0) lgkmcnt(5)
	v_mul_f64 v[54:55], v[58:59], v[50:51]
	s_delay_alu instid0(VALU_DEP_1) | instskip(SKIP_2) | instid1(VALU_DEP_2)
	v_fma_f64 v[62:63], v[56:57], v[48:49], v[54:55]
	v_mul_f64 v[48:49], v[58:59], v[48:49]
	v_add_f64 v[58:59], v[184:185], v[180:181]
	v_fma_f64 v[50:51], v[56:57], v[50:51], -v[48:49]
	scratch_load_b128 v[54:57], off, off offset:2648 ; 16-byte Folded Reload
	s_waitcnt vmcnt(0) lgkmcnt(4)
	v_mul_f64 v[48:49], v[56:57], v[46:47]
	s_delay_alu instid0(VALU_DEP_1) | instskip(SKIP_1) | instid1(VALU_DEP_1)
	v_fma_f64 v[48:49], v[54:55], v[44:45], v[48:49]
	v_mul_f64 v[44:45], v[56:57], v[44:45]
	v_fma_f64 v[44:45], v[54:55], v[46:47], -v[44:45]
	scratch_load_b128 v[54:57], off, off offset:2664 ; 16-byte Folded Reload
	s_waitcnt vmcnt(0) lgkmcnt(3)
	v_mul_f64 v[46:47], v[56:57], v[42:43]
	s_delay_alu instid0(VALU_DEP_1) | instskip(SKIP_1) | instid1(VALU_DEP_1)
	v_fma_f64 v[46:47], v[54:55], v[40:41], v[46:47]
	v_mul_f64 v[40:41], v[56:57], v[40:41]
	v_fma_f64 v[66:67], v[54:55], v[42:43], -v[40:41]
	scratch_load_b128 v[54:57], off, off offset:2680 ; 16-byte Folded Reload
	s_waitcnt vmcnt(0) lgkmcnt(2)
	v_mul_f64 v[40:41], v[56:57], v[38:39]
	s_delay_alu instid0(VALU_DEP_1) | instskip(SKIP_4) | instid1(VALU_DEP_3)
	v_fma_f64 v[94:95], v[54:55], v[36:37], v[40:41]
	scratch_load_b128 v[40:43], off, off offset:2696 ; 16-byte Folded Reload
	v_mul_f64 v[36:37], v[56:57], v[36:37]
	v_add_f64 v[56:57], v[4:5], v[186:187]
	v_add_f64 v[4:5], v[186:187], -v[4:5]
	v_fma_f64 v[38:39], v[54:55], v[38:39], -v[36:37]
	v_add_f64 v[54:55], v[10:11], v[176:177]
	v_add_f64 v[10:11], v[10:11], -v[176:177]
	s_delay_alu instid0(VALU_DEP_1) | instskip(SKIP_3) | instid1(VALU_DEP_1)
	v_add_f64 v[140:141], v[72:73], v[10:11]
	v_add_f64 v[146:147], v[72:73], -v[10:11]
	s_waitcnt vmcnt(0) lgkmcnt(1)
	v_mul_f64 v[36:37], v[42:43], v[34:35]
	v_fma_f64 v[36:37], v[40:41], v[32:33], v[36:37]
	v_mul_f64 v[32:33], v[42:43], v[32:33]
	s_delay_alu instid0(VALU_DEP_1)
	v_fma_f64 v[34:35], v[40:41], v[34:35], -v[32:33]
	scratch_load_b128 v[40:43], off, off offset:2712 ; 16-byte Folded Reload
	s_waitcnt vmcnt(0) lgkmcnt(0)
	s_barrier
	buffer_gl0_inv
	v_mul_f64 v[32:33], v[42:43], v[30:31]
	s_delay_alu instid0(VALU_DEP_1) | instskip(SKIP_3) | instid1(VALU_DEP_3)
	v_fma_f64 v[32:33], v[40:41], v[28:29], v[32:33]
	v_mul_f64 v[28:29], v[42:43], v[28:29]
	v_add_f64 v[42:43], v[2:3], v[182:183]
	v_add_f64 v[2:3], v[2:3], -v[182:183]
	v_fma_f64 v[70:71], v[40:41], v[30:31], -v[28:29]
	v_add_f64 v[28:29], v[197:198], v[178:179]
	v_add_f64 v[30:31], v[0:1], v[214:215]
	v_add_f64 v[40:41], v[197:198], -v[178:179]
	v_add_f64 v[0:1], v[0:1], -v[214:215]
	v_add_f64 v[122:123], v[4:5], v[2:3]
	v_add_f64 v[144:145], v[4:5], -v[2:3]
	v_add_f64 v[74:75], v[42:43], v[28:29]
	v_add_f64 v[76:77], v[54:55], v[30:31]
	v_add_f64 v[78:79], v[42:43], -v[28:29]
	v_add_f64 v[102:103], v[54:55], -v[30:31]
	v_add_f64 v[28:29], v[28:29], -v[56:57]
	v_add_f64 v[30:31], v[30:31], -v[58:59]
	v_add_f64 v[42:43], v[56:57], -v[42:43]
	v_add_f64 v[54:55], v[58:59], -v[54:55]
	v_add_f64 v[2:3], v[2:3], -v[40:41]
	v_add_f64 v[10:11], v[10:11], -v[0:1]
	v_add_f64 v[4:5], v[40:41], -v[4:5]
	v_add_f64 v[72:73], v[0:1], -v[72:73]
	v_add_f64 v[40:41], v[122:123], v[40:41]
	v_add_f64 v[0:1], v[140:141], v[0:1]
	;; [unrolled: 1-line block ×4, first 2 shown]
	v_mul_f64 v[74:75], v[144:145], s[22:23]
	v_mul_f64 v[76:77], v[146:147], s[22:23]
	v_mul_f64 v[122:123], v[2:3], s[24:25]
	v_mul_f64 v[144:145], v[10:11], s[24:25]
	v_add_f64 v[140:141], v[24:25], v[56:57]
	v_add_f64 v[142:143], v[26:27], v[58:59]
	v_mul_f64 v[24:25], v[28:29], s[26:27]
	v_mul_f64 v[26:27], v[30:31], s[26:27]
	;; [unrolled: 1-line block ×4, first 2 shown]
	v_fma_f64 v[2:3], v[2:3], s[4:5], -v[74:75]
	v_fma_f64 v[10:11], v[10:11], s[4:5], -v[76:77]
	v_fma_f64 v[56:57], v[56:57], s[20:21], v[140:141]
	v_fma_f64 v[58:59], v[58:59], s[20:21], v[142:143]
	;; [unrolled: 1-line block ×4, first 2 shown]
	v_fma_f64 v[28:29], v[78:79], s[14:15], -v[28:29]
	v_fma_f64 v[30:31], v[102:103], s[14:15], -v[30:31]
	;; [unrolled: 1-line block ×4, first 2 shown]
	v_fma_f64 v[78:79], v[4:5], s[18:19], v[74:75]
	v_fma_f64 v[102:103], v[72:73], s[18:19], v[76:77]
	;; [unrolled: 1-line block ×6, first 2 shown]
	v_add_f64 v[42:43], v[42:43], v[56:57]
	v_add_f64 v[54:55], v[54:55], v[58:59]
	;; [unrolled: 1-line block ×6, first 2 shown]
	v_fma_f64 v[56:57], v[40:41], s[2:3], v[78:79]
	v_fma_f64 v[58:59], v[0:1], s[2:3], v[102:103]
	;; [unrolled: 1-line block ×4, first 2 shown]
	v_add_f64 v[40:41], v[162:163], -v[166:167]
	v_add_f64 v[180:181], v[28:29], -v[10:11]
	v_add_f64 v[182:183], v[2:3], v[30:31]
	v_add_f64 v[184:185], v[10:11], v[28:29]
	v_add_f64 v[186:187], v[30:31], -v[2:3]
	v_add_f64 v[2:3], v[190:191], v[6:7]
	v_add_f64 v[10:11], v[164:165], v[218:219]
	v_add_f64 v[146:147], v[26:27], -v[4:5]
	v_add_f64 v[144:145], v[0:1], v[24:25]
	v_add_f64 v[172:173], v[24:25], -v[0:1]
	v_add_f64 v[174:175], v[4:5], v[26:27]
	v_add_f64 v[0:1], v[188:189], v[8:9]
	v_add_f64 v[4:5], v[188:189], -v[8:9]
	v_add_f64 v[8:9], v[216:217], v[158:159]
	v_add_f64 v[148:149], v[58:59], v[42:43]
	v_add_f64 v[150:151], v[54:55], -v[56:57]
	v_add_f64 v[176:177], v[42:43], -v[58:59]
	v_add_f64 v[178:179], v[56:57], v[54:55]
	v_add_f64 v[6:7], v[190:191], -v[6:7]
	v_add_f64 v[24:25], v[216:217], -v[158:159]
	;; [unrolled: 1-line block ×3, first 2 shown]
	v_add_f64 v[28:29], v[166:167], v[162:163]
	v_add_f64 v[30:31], v[160:161], v[156:157]
	v_add_f64 v[42:43], v[156:157], -v[160:161]
	v_add_f64 v[56:57], v[10:11], v[2:3]
	v_add_f64 v[72:73], v[10:11], -v[2:3]
	;; [unrolled: 2-line block ×4, first 2 shown]
	v_add_f64 v[0:1], v[0:1], -v[28:29]
	v_add_f64 v[2:3], v[2:3], -v[30:31]
	;; [unrolled: 1-line block ×4, first 2 shown]
	v_add_f64 v[76:77], v[42:43], v[26:27]
	v_add_f64 v[102:103], v[42:43], -v[26:27]
	v_add_f64 v[122:123], v[24:25], -v[4:5]
	;; [unrolled: 1-line block ×5, first 2 shown]
	v_add_f64 v[30:31], v[30:31], v[56:57]
	v_add_f64 v[28:29], v[28:29], v[54:55]
	v_add_f64 v[4:5], v[74:75], v[4:5]
	v_mul_f64 v[54:55], v[78:79], s[22:23]
	v_mul_f64 v[0:1], v[0:1], s[26:27]
	;; [unrolled: 1-line block ×3, first 2 shown]
	v_add_f64 v[6:7], v[76:77], v[6:7]
	v_mul_f64 v[56:57], v[102:103], s[22:23]
	v_mul_f64 v[74:75], v[122:123], s[24:25]
	;; [unrolled: 1-line block ×3, first 2 shown]
	v_add_f64 v[26:27], v[22:23], v[30:31]
	v_mul_f64 v[22:23], v[10:11], s[8:9]
	v_add_f64 v[24:25], v[20:21], v[28:29]
	v_mul_f64 v[20:21], v[8:9], s[8:9]
	v_fma_f64 v[8:9], v[8:9], s[8:9], v[0:1]
	v_fma_f64 v[10:11], v[10:11], s[8:9], v[2:3]
	v_fma_f64 v[0:1], v[58:59], s[16:17], -v[0:1]
	v_fma_f64 v[2:3], v[72:73], s[16:17], -v[2:3]
	v_fma_f64 v[30:31], v[30:31], s[20:21], v[26:27]
	v_fma_f64 v[22:23], v[72:73], s[14:15], -v[22:23]
	v_fma_f64 v[72:73], v[42:43], s[18:19], v[56:57]
	;; [unrolled: 2-line block ×3, first 2 shown]
	v_fma_f64 v[28:29], v[28:29], s[20:21], v[24:25]
	v_fma_f64 v[20:21], v[58:59], s[14:15], -v[20:21]
	v_fma_f64 v[58:59], v[40:41], s[18:19], v[54:55]
	v_fma_f64 v[54:55], v[122:123], s[4:5], -v[54:55]
	v_fma_f64 v[40:41], v[40:41], s[10:11], v[74:75]
	v_add_f64 v[10:11], v[10:11], v[30:31]
	v_add_f64 v[22:23], v[22:23], v[30:31]
	;; [unrolled: 1-line block ×3, first 2 shown]
	v_fma_f64 v[30:31], v[6:7], s[2:3], v[72:73]
	v_fma_f64 v[56:57], v[6:7], s[2:3], v[56:57]
	;; [unrolled: 1-line block ×3, first 2 shown]
	v_add_f64 v[8:9], v[8:9], v[28:29]
	v_add_f64 v[20:21], v[20:21], v[28:29]
	;; [unrolled: 1-line block ×3, first 2 shown]
	v_fma_f64 v[28:29], v[4:5], s[2:3], v[58:59]
	v_fma_f64 v[54:55], v[4:5], s[2:3], v[54:55]
	v_fma_f64 v[4:5], v[4:5], s[2:3], v[40:41]
	v_add_f64 v[40:41], v[132:133], -v[136:137]
	v_add_f64 v[216:217], v[30:31], v[8:9]
	v_add_f64 v[76:77], v[8:9], -v[30:31]
	v_add_f64 v[188:189], v[6:7], v[0:1]
	v_add_f64 v[218:219], v[10:11], -v[28:29]
	v_add_f64 v[156:157], v[0:1], -v[6:7]
	;; [unrolled: 1-line block ×3, first 2 shown]
	v_add_f64 v[158:159], v[4:5], v[2:3]
	v_add_f64 v[78:79], v[28:29], v[10:11]
	;; [unrolled: 1-line block ×6, first 2 shown]
	v_add_f64 v[164:165], v[20:21], -v[56:57]
	v_add_f64 v[166:167], v[54:55], v[22:23]
	v_add_f64 v[160:161], v[56:57], v[20:21]
	v_add_f64 v[162:163], v[22:23], -v[54:55]
	v_add_f64 v[4:5], v[152:153], -v[130:131]
	;; [unrolled: 1-line block ×5, first 2 shown]
	v_add_f64 v[28:29], v[12:13], v[138:139]
	v_add_f64 v[30:31], v[136:137], v[132:133]
	v_add_f64 v[12:13], v[138:139], -v[12:13]
	v_add_f64 v[42:43], v[8:9], v[0:1]
	v_add_f64 v[54:55], v[10:11], v[2:3]
	v_add_f64 v[56:57], v[8:9], -v[0:1]
	v_add_f64 v[58:59], v[10:11], -v[2:3]
	v_add_f64 v[74:75], v[40:41], v[22:23]
	v_add_f64 v[0:1], v[0:1], -v[28:29]
	v_add_f64 v[2:3], v[2:3], -v[30:31]
	;; [unrolled: 1-line block ×4, first 2 shown]
	v_add_f64 v[72:73], v[12:13], v[20:21]
	v_add_f64 v[102:103], v[12:13], -v[20:21]
	v_add_f64 v[128:129], v[40:41], -v[22:23]
	;; [unrolled: 1-line block ×6, first 2 shown]
	v_add_f64 v[28:29], v[28:29], v[42:43]
	v_add_f64 v[30:31], v[30:31], v[54:55]
	;; [unrolled: 1-line block ×3, first 2 shown]
	v_mul_f64 v[0:1], v[0:1], s[26:27]
	v_mul_f64 v[2:3], v[2:3], s[26:27]
	v_add_f64 v[4:5], v[72:73], v[4:5]
	v_mul_f64 v[42:43], v[102:103], s[22:23]
	v_mul_f64 v[54:55], v[128:129], s[22:23]
	;; [unrolled: 1-line block ×4, first 2 shown]
	v_add_f64 v[122:123], v[16:17], v[28:29]
	v_add_f64 v[124:125], v[18:19], v[30:31]
	v_mul_f64 v[16:17], v[8:9], s[8:9]
	v_mul_f64 v[18:19], v[10:11], s[8:9]
	v_fma_f64 v[8:9], v[8:9], s[8:9], v[0:1]
	v_fma_f64 v[10:11], v[10:11], s[8:9], v[2:3]
	v_fma_f64 v[0:1], v[56:57], s[16:17], -v[0:1]
	v_fma_f64 v[2:3], v[58:59], s[16:17], -v[2:3]
	;; [unrolled: 1-line block ×4, first 2 shown]
	v_fma_f64 v[28:29], v[28:29], s[20:21], v[122:123]
	v_fma_f64 v[30:31], v[30:31], s[20:21], v[124:125]
	v_fma_f64 v[16:17], v[56:57], s[14:15], -v[16:17]
	v_fma_f64 v[18:19], v[58:59], s[14:15], -v[18:19]
	v_fma_f64 v[56:57], v[12:13], s[18:19], v[42:43]
	v_fma_f64 v[58:59], v[40:41], s[18:19], v[54:55]
	;; [unrolled: 1-line block ×6, first 2 shown]
	v_add_f64 v[8:9], v[8:9], v[28:29]
	v_add_f64 v[10:11], v[10:11], v[30:31]
	;; [unrolled: 1-line block ×6, first 2 shown]
	v_fma_f64 v[28:29], v[4:5], s[2:3], v[56:57]
	v_fma_f64 v[30:31], v[6:7], s[2:3], v[58:59]
	;; [unrolled: 1-line block ×4, first 2 shown]
	v_add_f64 v[12:13], v[204:205], -v[110:111]
	v_add_f64 v[40:41], v[108:109], -v[112:113]
	;; [unrolled: 1-line block ×3, first 2 shown]
	v_add_f64 v[138:139], v[20:21], v[18:19]
	v_add_f64 v[132:133], v[22:23], v[16:17]
	v_add_f64 v[134:135], v[18:19], -v[20:21]
	v_add_f64 v[170:171], v[10:11], -v[28:29]
	v_add_f64 v[168:169], v[30:31], v[8:9]
	v_add_f64 v[154:155], v[2:3], -v[4:5]
	v_add_f64 v[152:153], v[6:7], v[0:1]
	;; [unrolled: 2-line block ×4, first 2 shown]
	v_add_f64 v[0:1], v[126:127], v[106:107]
	v_add_f64 v[2:3], v[120:121], v[100:101]
	v_add_f64 v[8:9], v[204:205], v[110:111]
	v_add_f64 v[10:11], v[116:117], v[104:105]
	v_add_f64 v[4:5], v[126:127], -v[106:107]
	v_add_f64 v[6:7], v[120:121], -v[100:101]
	;; [unrolled: 1-line block ×3, first 2 shown]
	v_add_f64 v[18:19], v[118:119], v[114:115]
	v_add_f64 v[28:29], v[112:113], v[108:109]
	v_add_f64 v[30:31], v[114:115], -v[118:119]
	v_add_f64 v[42:43], v[8:9], v[0:1]
	v_add_f64 v[54:55], v[10:11], v[2:3]
	v_add_f64 v[56:57], v[8:9], -v[0:1]
	v_add_f64 v[58:59], v[10:11], -v[2:3]
	v_add_f64 v[74:75], v[40:41], v[16:17]
	v_add_f64 v[0:1], v[0:1], -v[18:19]
	v_add_f64 v[2:3], v[2:3], -v[28:29]
	;; [unrolled: 1-line block ×4, first 2 shown]
	v_add_f64 v[72:73], v[30:31], v[12:13]
	v_add_f64 v[100:101], v[30:31], -v[12:13]
	v_add_f64 v[102:103], v[40:41], -v[16:17]
	;; [unrolled: 1-line block ×6, first 2 shown]
	v_add_f64 v[42:43], v[18:19], v[42:43]
	v_add_f64 v[28:29], v[28:29], v[54:55]
	;; [unrolled: 1-line block ×3, first 2 shown]
	v_mul_f64 v[0:1], v[0:1], s[26:27]
	v_mul_f64 v[2:3], v[2:3], s[26:27]
	;; [unrolled: 1-line block ×3, first 2 shown]
	v_add_f64 v[4:5], v[72:73], v[4:5]
	v_mul_f64 v[72:73], v[10:11], s[8:9]
	v_mul_f64 v[74:75], v[100:101], s[22:23]
	v_mul_f64 v[100:101], v[102:103], s[22:23]
	v_mul_f64 v[102:103], v[12:13], s[24:25]
	v_mul_f64 v[106:107], v[104:105], s[24:25]
	v_add_f64 v[16:17], v[199:200], v[42:43]
	v_add_f64 v[18:19], v[201:202], v[28:29]
	v_fma_f64 v[8:9], v[8:9], s[8:9], v[0:1]
	v_fma_f64 v[10:11], v[10:11], s[8:9], v[2:3]
	v_fma_f64 v[54:55], v[56:57], s[14:15], -v[54:55]
	v_fma_f64 v[0:1], v[56:57], s[16:17], -v[0:1]
	;; [unrolled: 1-line block ×4, first 2 shown]
	v_fma_f64 v[56:57], v[30:31], s[18:19], v[74:75]
	v_fma_f64 v[58:59], v[40:41], s[18:19], v[100:101]
	v_fma_f64 v[12:13], v[12:13], s[4:5], -v[74:75]
	v_fma_f64 v[74:75], v[104:105], s[4:5], -v[100:101]
	v_fma_f64 v[30:31], v[30:31], s[10:11], v[102:103]
	v_fma_f64 v[40:41], v[40:41], s[10:11], v[106:107]
	v_fma_f64 v[42:43], v[42:43], s[20:21], v[16:17]
	v_fma_f64 v[28:29], v[28:29], s[20:21], v[18:19]
	v_fma_f64 v[12:13], v[4:5], s[2:3], v[12:13]
	s_delay_alu instid0(VALU_DEP_3) | instskip(NEXT) | instid1(VALU_DEP_3)
	v_add_f64 v[8:9], v[8:9], v[42:43]
	v_add_f64 v[10:11], v[10:11], v[28:29]
	v_add_f64 v[54:55], v[54:55], v[42:43]
	v_add_f64 v[72:73], v[72:73], v[28:29]
	v_add_f64 v[0:1], v[0:1], v[42:43]
	v_add_f64 v[2:3], v[2:3], v[28:29]
	v_fma_f64 v[28:29], v[4:5], s[2:3], v[56:57]
	v_fma_f64 v[42:43], v[6:7], s[2:3], v[58:59]
	v_fma_f64 v[56:57], v[6:7], s[2:3], v[74:75]
	v_fma_f64 v[4:5], v[4:5], s[2:3], v[30:31]
	v_fma_f64 v[6:7], v[6:7], s[2:3], v[40:41]
	v_add_f64 v[30:31], v[192:193], -v[86:87]
	v_add_f64 v[40:41], v[92:93], -v[80:81]
	v_add_f64 v[110:111], v[12:13], v[72:73]
	v_add_f64 v[106:107], v[72:73], -v[12:13]
	v_add_f64 v[12:13], v[192:193], v[86:87]
	;; [unrolled: 2-line block ×3, first 2 shown]
	v_add_f64 v[108:109], v[54:55], -v[56:57]
	v_add_f64 v[114:115], v[2:3], -v[4:5]
	v_add_f64 v[112:113], v[6:7], v[0:1]
	v_add_f64 v[100:101], v[0:1], -v[6:7]
	v_add_f64 v[102:103], v[4:5], v[2:3]
	v_add_f64 v[6:7], v[28:29], v[10:11]
	;; [unrolled: 1-line block ×6, first 2 shown]
	v_add_f64 v[4:5], v[8:9], -v[42:43]
	v_add_f64 v[8:9], v[194:195], -v[82:83]
	v_add_f64 v[42:43], v[14:15], v[90:91]
	v_add_f64 v[54:55], v[88:89], v[84:85]
	v_add_f64 v[14:15], v[90:91], -v[14:15]
	v_add_f64 v[56:57], v[84:85], -v[88:89]
	;; [unrolled: 1-line block ×3, first 2 shown]
	v_add_f64 v[58:59], v[12:13], v[0:1]
	v_add_f64 v[74:75], v[12:13], -v[0:1]
	v_add_f64 v[72:73], v[28:29], v[2:3]
	v_add_f64 v[80:81], v[28:29], -v[2:3]
	v_add_f64 v[0:1], v[0:1], -v[42:43]
	;; [unrolled: 1-line block ×5, first 2 shown]
	v_add_f64 v[82:83], v[14:15], v[30:31]
	v_add_f64 v[84:85], v[56:57], v[40:41]
	v_add_f64 v[86:87], v[14:15], -v[30:31]
	v_add_f64 v[88:89], v[56:57], -v[40:41]
	;; [unrolled: 1-line block ×6, first 2 shown]
	v_add_f64 v[42:43], v[42:43], v[58:59]
	v_add_f64 v[54:55], v[54:55], v[72:73]
	v_mul_f64 v[0:1], v[0:1], s[26:27]
	v_mul_f64 v[2:3], v[2:3], s[26:27]
	;; [unrolled: 1-line block ×3, first 2 shown]
	v_add_f64 v[8:9], v[82:83], v[8:9]
	v_add_f64 v[10:11], v[84:85], v[10:11]
	v_mul_f64 v[84:85], v[86:87], s[22:23]
	v_mul_f64 v[86:87], v[88:89], s[22:23]
	v_mul_f64 v[88:89], v[30:31], s[24:25]
	v_mul_f64 v[82:83], v[28:29], s[8:9]
	v_mul_f64 v[92:93], v[40:41], s[24:25]
	v_add_f64 v[56:57], v[210:211], v[42:43]
	v_add_f64 v[58:59], v[212:213], v[54:55]
	v_fma_f64 v[12:13], v[12:13], s[8:9], v[0:1]
	v_fma_f64 v[28:29], v[28:29], s[8:9], v[2:3]
	v_fma_f64 v[72:73], v[74:75], s[14:15], -v[72:73]
	v_fma_f64 v[0:1], v[74:75], s[16:17], -v[0:1]
	v_fma_f64 v[2:3], v[80:81], s[16:17], -v[2:3]
	v_fma_f64 v[74:75], v[14:15], s[18:19], v[84:85]
	v_fma_f64 v[30:31], v[30:31], s[4:5], -v[84:85]
	v_fma_f64 v[14:15], v[14:15], s[10:11], v[88:89]
	v_fma_f64 v[82:83], v[80:81], s[14:15], -v[82:83]
	;; [unrolled: 2-line block ×3, first 2 shown]
	v_fma_f64 v[84:85], v[90:91], s[10:11], v[92:93]
	v_fma_f64 v[42:43], v[42:43], s[20:21], v[56:57]
	;; [unrolled: 1-line block ×5, first 2 shown]
	s_delay_alu instid0(VALU_DEP_4)
	v_add_f64 v[12:13], v[12:13], v[42:43]
	v_add_f64 v[72:73], v[72:73], v[42:43]
	;; [unrolled: 1-line block ×4, first 2 shown]
	v_fma_f64 v[42:43], v[8:9], s[2:3], v[74:75]
	v_fma_f64 v[8:9], v[8:9], s[2:3], v[14:15]
	v_add_f64 v[28:29], v[28:29], v[54:55]
	v_add_f64 v[92:93], v[82:83], v[54:55]
	v_fma_f64 v[54:55], v[10:11], s[2:3], v[80:81]
	v_fma_f64 v[10:11], v[10:11], s[2:3], v[84:85]
	v_add_f64 v[14:15], v[246:247], v[68:69]
	v_add_f64 v[80:81], v[72:73], -v[40:41]
	v_add_f64 v[72:73], v[40:41], v[72:73]
	v_add_f64 v[40:41], v[248:249], v[252:253]
	v_add_f64 v[86:87], v[2:3], -v[8:9]
	v_add_f64 v[203:204], v[8:9], v[2:3]
	v_add_f64 v[2:3], v[226:227], v[52:53]
	v_add_f64 v[88:89], v[54:55], v[12:13]
	v_add_f64 v[90:91], v[28:29], -v[42:43]
	v_add_f64 v[84:85], v[10:11], v[0:1]
	v_add_f64 v[201:202], v[0:1], -v[10:11]
	v_add_f64 v[192:193], v[12:13], -v[54:55]
	v_add_f64 v[194:195], v[42:43], v[28:29]
	v_add_f64 v[0:1], v[224:225], v[64:65]
	v_add_f64 v[8:9], v[224:225], -v[64:65]
	v_add_f64 v[10:11], v[226:227], -v[52:53]
	v_add_f64 v[12:13], v[240:241], v[60:61]
	v_add_f64 v[28:29], v[240:241], -v[60:61]
	v_add_f64 v[42:43], v[250:251], v[254:255]
	;; [unrolled: 2-line block ×3, first 2 shown]
	v_add_f64 v[74:75], v[92:93], -v[30:31]
	v_add_f64 v[30:31], v[246:247], -v[68:69]
	v_add_f64 v[54:55], v[254:255], -v[250:251]
	v_add_f64 v[64:65], v[14:15], v[2:3]
	v_add_f64 v[92:93], v[14:15], -v[2:3]
	v_add_f64 v[60:61], v[12:13], v[0:1]
	v_add_f64 v[68:69], v[12:13], -v[0:1]
	v_add_f64 v[0:1], v[0:1], -v[40:41]
	;; [unrolled: 1-line block ×5, first 2 shown]
	v_add_f64 v[96:97], v[52:53], v[28:29]
	v_add_f64 v[120:121], v[52:53], -v[28:29]
	v_add_f64 v[197:198], v[28:29], -v[8:9]
	v_add_f64 v[98:99], v[54:55], v[30:31]
	v_add_f64 v[126:127], v[54:55], -v[30:31]
	v_add_f64 v[52:53], v[8:9], -v[52:53]
	;; [unrolled: 1-line block ×4, first 2 shown]
	v_add_f64 v[42:43], v[42:43], v[64:65]
	v_add_f64 v[40:41], v[40:41], v[60:61]
	v_mul_f64 v[0:1], v[0:1], s[26:27]
	v_mul_f64 v[2:3], v[2:3], s[26:27]
	;; [unrolled: 1-line block ×4, first 2 shown]
	v_add_f64 v[8:9], v[96:97], v[8:9]
	v_mul_f64 v[96:97], v[120:121], s[22:23]
	v_mul_f64 v[120:121], v[197:198], s[24:25]
	v_add_f64 v[10:11], v[98:99], v[10:11]
	v_mul_f64 v[98:99], v[126:127], s[22:23]
	v_mul_f64 v[126:127], v[199:200], s[24:25]
	v_add_f64 v[30:31], v[208:209], v[42:43]
	v_add_f64 v[28:29], v[206:207], v[40:41]
	v_fma_f64 v[12:13], v[12:13], s[8:9], v[0:1]
	v_fma_f64 v[14:15], v[14:15], s[8:9], v[2:3]
	v_fma_f64 v[60:61], v[68:69], s[14:15], -v[60:61]
	v_fma_f64 v[64:65], v[92:93], s[14:15], -v[64:65]
	;; [unrolled: 1-line block ×4, first 2 shown]
	v_fma_f64 v[68:69], v[52:53], s[18:19], v[96:97]
	v_fma_f64 v[96:97], v[197:198], s[4:5], -v[96:97]
	v_fma_f64 v[52:53], v[52:53], s[10:11], v[120:121]
	v_fma_f64 v[92:93], v[54:55], s[18:19], v[98:99]
	v_fma_f64 v[98:99], v[199:200], s[4:5], -v[98:99]
	v_fma_f64 v[54:55], v[54:55], s[10:11], v[126:127]
	v_fma_f64 v[42:43], v[42:43], s[20:21], v[30:31]
	;; [unrolled: 1-line block ×5, first 2 shown]
	s_delay_alu instid0(VALU_DEP_4)
	v_add_f64 v[14:15], v[14:15], v[42:43]
	v_add_f64 v[64:65], v[64:65], v[42:43]
	;; [unrolled: 1-line block ×3, first 2 shown]
	v_fma_f64 v[42:43], v[8:9], s[2:3], v[96:97]
	v_fma_f64 v[8:9], v[8:9], s[2:3], v[52:53]
	v_add_f64 v[12:13], v[12:13], v[40:41]
	v_add_f64 v[60:61], v[60:61], v[40:41]
	;; [unrolled: 1-line block ×3, first 2 shown]
	v_fma_f64 v[40:41], v[10:11], s[2:3], v[98:99]
	v_fma_f64 v[10:11], v[10:11], s[2:3], v[54:55]
	v_add_f64 v[54:55], v[14:15], -v[68:69]
	v_add_f64 v[199:200], v[68:69], v[14:15]
	v_add_f64 v[14:15], v[44:45], v[34:35]
	v_add_f64 v[34:35], v[44:45], -v[34:35]
	v_add_f64 v[248:249], v[2:3], -v[8:9]
	v_add_f64 v[98:99], v[8:9], v[2:3]
	v_add_f64 v[2:3], v[50:51], v[70:71]
	v_add_f64 v[8:9], v[62:63], -v[32:33]
	v_add_f64 v[44:45], v[66:67], v[38:39]
	v_add_f64 v[38:39], v[38:39], -v[66:67]
	;; [unrolled: 2-line block ×6, first 2 shown]
	v_add_f64 v[32:33], v[48:49], -v[36:37]
	v_add_f64 v[36:37], v[46:47], v[94:95]
	v_add_f64 v[46:47], v[94:95], -v[46:47]
	v_add_f64 v[226:227], v[42:43], v[64:65]
	v_add_f64 v[40:41], v[40:41], v[60:61]
	v_add_f64 v[42:43], v[64:65], -v[42:43]
	v_add_f64 v[50:51], v[14:15], v[2:3]
	v_add_f64 v[62:63], v[14:15], -v[2:3]
	v_add_f64 v[66:67], v[2:3], -v[44:45]
	;; [unrolled: 1-line block ×3, first 2 shown]
	v_add_f64 v[2:3], v[38:39], v[34:35]
	v_add_f64 v[70:71], v[38:39], -v[34:35]
	v_add_f64 v[48:49], v[12:13], v[0:1]
	v_add_f64 v[60:61], v[12:13], -v[0:1]
	v_add_f64 v[38:39], v[10:11], -v[38:39]
	;; [unrolled: 1-line block ×4, first 2 shown]
	v_add_f64 v[0:1], v[46:47], v[32:33]
	v_add_f64 v[32:33], v[32:33], -v[8:9]
	v_add_f64 v[34:35], v[34:35], -v[10:11]
	;; [unrolled: 1-line block ×4, first 2 shown]
	v_add_f64 v[44:45], v[44:45], v[50:51]
	v_mul_f64 v[50:51], v[66:67], s[26:27]
	v_mul_f64 v[66:67], v[14:15], s[8:9]
	v_add_f64 v[10:11], v[2:3], v[10:11]
	v_mul_f64 v[70:71], v[70:71], s[22:23]
	v_add_f64 v[36:37], v[36:37], v[48:49]
	v_mul_f64 v[48:49], v[64:65], s[26:27]
	v_mul_f64 v[68:69], v[68:69], s[22:23]
	v_add_f64 v[8:9], v[0:1], v[8:9]
	v_mul_f64 v[92:93], v[32:33], s[24:25]
	v_mul_f64 v[94:95], v[34:35], s[24:25]
	;; [unrolled: 1-line block ×3, first 2 shown]
	v_add_f64 v[2:3], v[222:223], v[44:45]
	v_fma_f64 v[14:15], v[14:15], s[8:9], v[50:51]
	v_fma_f64 v[66:67], v[62:63], s[14:15], -v[66:67]
	v_fma_f64 v[50:51], v[62:63], s[16:17], -v[50:51]
	v_fma_f64 v[62:63], v[38:39], s[18:19], v[70:71]
	v_fma_f64 v[34:35], v[34:35], s[4:5], -v[70:71]
	v_add_f64 v[0:1], v[220:221], v[36:37]
	v_fma_f64 v[12:13], v[12:13], s[8:9], v[48:49]
	v_fma_f64 v[32:33], v[32:33], s[4:5], -v[68:69]
	v_fma_f64 v[48:49], v[60:61], s[16:17], -v[48:49]
	v_fma_f64 v[38:39], v[38:39], s[10:11], v[94:95]
	v_fma_f64 v[64:65], v[60:61], s[14:15], -v[64:65]
	v_fma_f64 v[60:61], v[46:47], s[18:19], v[68:69]
	v_fma_f64 v[46:47], v[46:47], s[10:11], v[92:93]
	;; [unrolled: 1-line block ×10, first 2 shown]
	v_add_f64 v[66:67], v[66:67], v[44:45]
	v_add_f64 v[70:71], v[50:51], v[44:45]
	v_add_f64 v[14:15], v[14:15], v[44:45]
	v_add_f64 v[12:13], v[12:13], v[36:37]
	v_add_f64 v[68:69], v[48:49], v[36:37]
	v_add_f64 v[64:65], v[64:65], v[36:37]
	v_add_f64 v[62:63], v[32:33], v[66:67]
	v_add_f64 v[50:51], v[66:67], -v[32:33]
	scratch_load_b32 v32, off, off offset:2752 ; 4-byte Folded Reload
	s_waitcnt vmcnt(0)
	ds_store_b128 v32, v[140:143]
	ds_store_b128 v32, v[148:151] offset:112
	ds_store_b128 v32, v[144:147] offset:224
	ds_store_b128 v32, v[180:183] offset:336
	ds_store_b128 v32, v[184:187] offset:448
	ds_store_b128 v32, v[172:175] offset:560
	ds_store_b128 v32, v[176:179] offset:672
	scratch_load_b32 v32, off, off offset:2744 ; 4-byte Folded Reload
	s_waitcnt vmcnt(0)
	ds_store_b128 v32, v[24:27]
	ds_store_b128 v32, v[216:219] offset:112
	ds_store_b128 v32, v[188:191] offset:224
	ds_store_b128 v32, v[164:167] offset:336
	ds_store_b128 v32, v[160:163] offset:448
	ds_store_b128 v32, v[156:159] offset:560
	ds_store_b128 v32, v[76:79] offset:672
	;; [unrolled: 9-line block ×6, first 2 shown]
	scratch_load_b32 v4, off, off offset:924 ; 4-byte Folded Reload
	v_add_f64 v[44:45], v[94:95], v[12:13]
	v_add_f64 v[46:47], v[14:15], -v[92:93]
	v_add_f64 v[36:37], v[8:9], v[68:69]
	v_add_f64 v[38:39], v[70:71], -v[120:121]
	v_add_f64 v[60:61], v[64:65], -v[34:35]
	v_add_f64 v[48:49], v[34:35], v[64:65]
	v_add_f64 v[8:9], v[68:69], -v[8:9]
	v_add_f64 v[10:11], v[120:121], v[70:71]
	;; [unrolled: 2-line block ×3, first 2 shown]
	s_waitcnt vmcnt(0)
	ds_store_b128 v4, v[0:3]
	ds_store_b128 v4, v[44:47] offset:112
	ds_store_b128 v4, v[36:39] offset:224
	;; [unrolled: 1-line block ×6, first 2 shown]
	s_waitcnt lgkmcnt(0)
	s_barrier
	buffer_gl0_inv
	ds_load_b128 v[0:3], v196
	ds_load_b128 v[192:195], v196 offset:5488
	ds_load_b128 v[188:191], v196 offset:10976
	;; [unrolled: 1-line block ×48, first 2 shown]
	s_waitcnt lgkmcnt(47)
	v_mul_f64 v[197:198], v[234:235], v[194:195]
	s_delay_alu instid0(VALU_DEP_1) | instskip(SKIP_1) | instid1(VALU_DEP_1)
	v_fma_f64 v[226:227], v[232:233], v[192:193], v[197:198]
	v_mul_f64 v[192:193], v[234:235], v[192:193]
	v_fma_f64 v[240:241], v[232:233], v[194:195], -v[192:193]
	s_waitcnt lgkmcnt(46)
	v_mul_f64 v[192:193], v[238:239], v[190:191]
	s_delay_alu instid0(VALU_DEP_1) | instskip(SKIP_1) | instid1(VALU_DEP_1)
	v_fma_f64 v[246:247], v[236:237], v[188:189], v[192:193]
	v_mul_f64 v[188:189], v[238:239], v[188:189]
	v_fma_f64 v[248:249], v[236:237], v[190:191], -v[188:189]
	scratch_load_b128 v[190:193], off, off offset:1200 ; 16-byte Folded Reload
	s_waitcnt vmcnt(0) lgkmcnt(45)
	v_mul_f64 v[188:189], v[192:193], v[186:187]
	s_delay_alu instid0(VALU_DEP_1) | instskip(SKIP_1) | instid1(VALU_DEP_1)
	v_fma_f64 v[250:251], v[190:191], v[184:185], v[188:189]
	v_mul_f64 v[184:185], v[192:193], v[184:185]
	v_fma_f64 v[252:253], v[190:191], v[186:187], -v[184:185]
	scratch_load_b128 v[186:189], off, off offset:1232 ; 16-byte Folded Reload
	s_waitcnt vmcnt(0) lgkmcnt(44)
	v_mul_f64 v[184:185], v[188:189], v[182:183]
	v_dual_mov_b32 v208, v189 :: v_dual_mov_b32 v207, v188
	v_dual_mov_b32 v206, v187 :: v_dual_mov_b32 v205, v186
	s_delay_alu instid0(VALU_DEP_3) | instskip(SKIP_1) | instid1(VALU_DEP_1)
	v_fma_f64 v[254:255], v[186:187], v[180:181], v[184:185]
	v_mul_f64 v[180:181], v[188:189], v[180:181]
	v_fma_f64 v[224:225], v[186:187], v[182:183], -v[180:181]
	s_waitcnt lgkmcnt(43)
	v_mul_f64 v[180:181], v[230:231], v[178:179]
	s_delay_alu instid0(VALU_DEP_1) | instskip(SKIP_1) | instid1(VALU_DEP_1)
	v_fma_f64 v[197:198], v[228:229], v[176:177], v[180:181]
	v_mul_f64 v[176:177], v[230:231], v[176:177]
	v_fma_f64 v[199:200], v[228:229], v[178:179], -v[176:177]
	s_waitcnt lgkmcnt(42)
	v_mul_f64 v[176:177], v[244:245], v[174:175]
	s_delay_alu instid0(VALU_DEP_1) | instskip(SKIP_1) | instid1(VALU_DEP_1)
	;; [unrolled: 6-line block ×8, first 2 shown]
	v_fma_f64 v[220:221], v[242:243], v[148:149], v[152:153]
	v_mul_f64 v[148:149], v[244:245], v[148:149]
	v_fma_f64 v[222:223], v[242:243], v[150:151], -v[148:149]
	scratch_load_b128 v[150:153], off, off offset:908 ; 16-byte Folded Reload
	s_waitcnt vmcnt(0) lgkmcnt(33)
	v_mul_f64 v[148:149], v[152:153], v[146:147]
	s_delay_alu instid0(VALU_DEP_1) | instskip(SKIP_1) | instid1(VALU_DEP_1)
	v_fma_f64 v[168:169], v[150:151], v[144:145], v[148:149]
	v_mul_f64 v[144:145], v[152:153], v[144:145]
	v_fma_f64 v[170:171], v[150:151], v[146:147], -v[144:145]
	scratch_load_b128 v[146:149], off, off offset:940 ; 16-byte Folded Reload
	s_waitcnt vmcnt(0) lgkmcnt(32)
	v_mul_f64 v[144:145], v[148:149], v[142:143]
	s_delay_alu instid0(VALU_DEP_1) | instskip(SKIP_1) | instid1(VALU_DEP_1)
	v_fma_f64 v[160:161], v[146:147], v[140:141], v[144:145]
	v_mul_f64 v[140:141], v[148:149], v[140:141]
	v_fma_f64 v[162:163], v[146:147], v[142:143], -v[140:141]
	scratch_load_b128 v[142:145], off, off offset:956 ; 16-byte Folded Reload
	s_waitcnt vmcnt(0) lgkmcnt(31)
	v_mul_f64 v[140:141], v[144:145], v[138:139]
	s_delay_alu instid0(VALU_DEP_1)
	v_fma_f64 v[140:141], v[142:143], v[136:137], v[140:141]
	v_mul_f64 v[136:137], v[144:145], v[136:137]
	scratch_load_b128 v[144:147], off, off offset:972 ; 16-byte Folded Reload
	v_fma_f64 v[142:143], v[142:143], v[138:139], -v[136:137]
	s_waitcnt vmcnt(0) lgkmcnt(30)
	v_mul_f64 v[136:137], v[146:147], v[134:135]
	s_delay_alu instid0(VALU_DEP_1) | instskip(SKIP_1) | instid1(VALU_DEP_1)
	v_fma_f64 v[164:165], v[144:145], v[132:133], v[136:137]
	v_mul_f64 v[132:133], v[146:147], v[132:133]
	v_fma_f64 v[166:167], v[144:145], v[134:135], -v[132:133]
	scratch_load_b128 v[134:137], off, off offset:988 ; 16-byte Folded Reload
	s_waitcnt vmcnt(0) lgkmcnt(29)
	v_mul_f64 v[132:133], v[136:137], v[130:131]
	s_delay_alu instid0(VALU_DEP_1) | instskip(SKIP_1) | instid1(VALU_DEP_1)
	v_fma_f64 v[172:173], v[134:135], v[128:129], v[132:133]
	v_mul_f64 v[128:129], v[136:137], v[128:129]
	v_fma_f64 v[174:175], v[134:135], v[130:131], -v[128:129]
	scratch_load_b128 v[130:133], off, off offset:1004 ; 16-byte Folded Reload
	;; [unrolled: 7-line block ×9, first 2 shown]
	v_add_f64 v[106:107], v[194:195], -v[190:191]
	s_waitcnt vmcnt(0) lgkmcnt(19)
	v_mul_f64 v[100:101], v[104:105], v[98:99]
	s_delay_alu instid0(VALU_DEP_1) | instskip(SKIP_2) | instid1(VALU_DEP_2)
	v_fma_f64 v[112:113], v[102:103], v[96:97], v[100:101]
	v_mul_f64 v[96:97], v[104:105], v[96:97]
	v_add_f64 v[104:105], v[192:193], -v[188:189]
	v_fma_f64 v[114:115], v[102:103], v[98:99], -v[96:97]
	scratch_load_b128 v[98:101], off, off offset:1368 ; 16-byte Folded Reload
	v_add_f64 v[102:103], v[190:191], v[194:195]
	s_waitcnt vmcnt(0) lgkmcnt(18)
	v_mul_f64 v[96:97], v[100:101], v[94:95]
	s_delay_alu instid0(VALU_DEP_1) | instskip(SKIP_2) | instid1(VALU_DEP_2)
	v_fma_f64 v[116:117], v[98:99], v[92:93], v[96:97]
	v_mul_f64 v[92:93], v[100:101], v[92:93]
	v_add_f64 v[100:101], v[188:189], v[192:193]
	v_fma_f64 v[92:93], v[98:99], v[94:95], -v[92:93]
	scratch_load_b128 v[96:99], off, off offset:1384 ; 16-byte Folded Reload
	s_waitcnt vmcnt(0) lgkmcnt(17)
	v_mul_f64 v[94:95], v[98:99], v[90:91]
	s_delay_alu instid0(VALU_DEP_1) | instskip(SKIP_1) | instid1(VALU_DEP_1)
	v_fma_f64 v[94:95], v[96:97], v[88:89], v[94:95]
	v_mul_f64 v[88:89], v[98:99], v[88:89]
	v_fma_f64 v[118:119], v[96:97], v[90:91], -v[88:89]
	scratch_load_b128 v[96:99], off, off offset:1400 ; 16-byte Folded Reload
	s_waitcnt vmcnt(0) lgkmcnt(16)
	v_mul_f64 v[88:89], v[98:99], v[86:87]
	s_delay_alu instid0(VALU_DEP_1) | instskip(SKIP_1) | instid1(VALU_DEP_1)
	v_fma_f64 v[120:121], v[96:97], v[84:85], v[88:89]
	v_mul_f64 v[84:85], v[98:99], v[84:85]
	;; [unrolled: 7-line block ×4, first 2 shown]
	v_fma_f64 v[130:131], v[82:83], v[78:79], -v[76:77]
	scratch_load_b128 v[82:85], off, off offset:1612 ; 16-byte Folded Reload
	s_waitcnt vmcnt(0) lgkmcnt(12)
	v_mul_f64 v[76:77], v[84:85], v[74:75]
	s_delay_alu instid0(VALU_DEP_1) | instskip(SKIP_2) | instid1(VALU_DEP_1)
	v_fma_f64 v[80:81], v[82:83], v[72:73], v[76:77]
	scratch_load_b128 v[76:79], off, off offset:1644 ; 16-byte Folded Reload
	v_mul_f64 v[72:73], v[84:85], v[72:73]
	v_fma_f64 v[72:73], v[82:83], v[74:75], -v[72:73]
	s_waitcnt vmcnt(0) lgkmcnt(11)
	v_mul_f64 v[74:75], v[78:79], v[70:71]
	s_delay_alu instid0(VALU_DEP_1) | instskip(SKIP_1) | instid1(VALU_DEP_1)
	v_fma_f64 v[74:75], v[76:77], v[68:69], v[74:75]
	v_mul_f64 v[68:69], v[78:79], v[68:69]
	v_fma_f64 v[82:83], v[76:77], v[70:71], -v[68:69]
	scratch_load_b128 v[76:79], off, off offset:1676 ; 16-byte Folded Reload
	s_waitcnt vmcnt(0) lgkmcnt(10)
	v_mul_f64 v[68:69], v[78:79], v[66:67]
	s_delay_alu instid0(VALU_DEP_1) | instskip(SKIP_2) | instid1(VALU_DEP_1)
	v_fma_f64 v[84:85], v[76:77], v[64:65], v[68:69]
	scratch_load_b128 v[68:71], off, off offset:1692 ; 16-byte Folded Reload
	v_mul_f64 v[64:65], v[78:79], v[64:65]
	v_fma_f64 v[64:65], v[76:77], v[66:67], -v[64:65]
	s_waitcnt vmcnt(0) lgkmcnt(9)
	v_mul_f64 v[66:67], v[70:71], v[62:63]
	s_delay_alu instid0(VALU_DEP_1) | instskip(SKIP_1) | instid1(VALU_DEP_1)
	v_fma_f64 v[66:67], v[68:69], v[60:61], v[66:67]
	v_mul_f64 v[60:61], v[70:71], v[60:61]
	v_fma_f64 v[60:61], v[68:69], v[62:63], -v[60:61]
	scratch_load_b128 v[68:71], off, off offset:1708 ; 16-byte Folded Reload
	s_waitcnt vmcnt(0) lgkmcnt(8)
	v_mul_f64 v[62:63], v[70:71], v[58:59]
	s_delay_alu instid0(VALU_DEP_1) | instskip(SKIP_1) | instid1(VALU_DEP_1)
	v_fma_f64 v[62:63], v[68:69], v[56:57], v[62:63]
	v_mul_f64 v[56:57], v[70:71], v[56:57]
	v_fma_f64 v[86:87], v[68:69], v[58:59], -v[56:57]
	scratch_load_b128 v[68:71], off, off offset:1724 ; 16-byte Folded Reload
	;; [unrolled: 7-line block ×3, first 2 shown]
	s_waitcnt vmcnt(0) lgkmcnt(5)
	v_mul_f64 v[52:53], v[56:57], v[42:43]
	s_delay_alu instid0(VALU_DEP_1)
	v_fma_f64 v[52:53], v[54:55], v[40:41], v[52:53]
	v_mul_f64 v[40:41], v[56:57], v[40:41]
	scratch_load_b128 v[56:59], off, off offset:1924 ; 16-byte Folded Reload
	v_fma_f64 v[54:55], v[54:55], v[42:43], -v[40:41]
	s_waitcnt vmcnt(0) lgkmcnt(4)
	v_mul_f64 v[40:41], v[58:59], v[34:35]
	s_delay_alu instid0(VALU_DEP_1) | instskip(SKIP_2) | instid1(VALU_DEP_1)
	v_fma_f64 v[228:229], v[56:57], v[32:33], v[40:41]
	scratch_load_b128 v[40:43], off, off offset:1940 ; 16-byte Folded Reload
	v_mul_f64 v[32:33], v[58:59], v[32:33]
	v_fma_f64 v[230:231], v[56:57], v[34:35], -v[32:33]
	v_add_f64 v[34:35], v[252:253], v[224:225]
	s_waitcnt vmcnt(0) lgkmcnt(3)
	v_mul_f64 v[32:33], v[42:43], v[30:31]
	s_delay_alu instid0(VALU_DEP_1) | instskip(SKIP_2) | instid1(VALU_DEP_2)
	v_fma_f64 v[232:233], v[40:41], v[28:29], v[32:33]
	v_mul_f64 v[28:29], v[42:43], v[28:29]
	v_add_f64 v[42:43], v[224:225], -v[252:253]
	v_fma_f64 v[234:235], v[40:41], v[30:31], -v[28:29]
	scratch_load_b128 v[30:33], off, off offset:1972 ; 16-byte Folded Reload
	v_add_f64 v[40:41], v[254:255], -v[250:251]
	s_waitcnt vmcnt(0) lgkmcnt(2)
	v_mul_f64 v[28:29], v[32:33], v[26:27]
	s_delay_alu instid0(VALU_DEP_1) | instskip(SKIP_2) | instid1(VALU_DEP_2)
	v_fma_f64 v[236:237], v[30:31], v[24:25], v[28:29]
	v_mul_f64 v[24:25], v[32:33], v[24:25]
	v_add_f64 v[32:33], v[250:251], v[254:255]
	v_fma_f64 v[206:207], v[30:31], v[26:27], -v[24:25]
	scratch_load_b128 v[26:29], off, off offset:2004 ; 16-byte Folded Reload
	v_add_f64 v[30:31], v[248:249], -v[199:200]
	s_delay_alu instid0(VALU_DEP_1) | instskip(SKIP_3) | instid1(VALU_DEP_1)
	v_add_f64 v[78:79], v[42:43], v[30:31]
	v_add_f64 v[98:99], v[42:43], -v[30:31]
	s_waitcnt vmcnt(0) lgkmcnt(1)
	v_mul_f64 v[24:25], v[28:29], v[18:19]
	v_fma_f64 v[208:209], v[26:27], v[16:17], v[24:25]
	v_mul_f64 v[16:17], v[28:29], v[16:17]
	v_add_f64 v[28:29], v[246:247], -v[197:198]
	s_delay_alu instid0(VALU_DEP_2)
	v_fma_f64 v[210:211], v[26:27], v[18:19], -v[16:17]
	scratch_load_b128 v[24:27], off, off offset:2020 ; 16-byte Folded Reload
	v_add_f64 v[18:19], v[240:241], -v[203:204]
	v_add_f64 v[76:77], v[40:41], v[28:29]
	v_add_f64 v[96:97], v[40:41], -v[28:29]
	s_waitcnt vmcnt(0) lgkmcnt(0)
	s_barrier
	buffer_gl0_inv
	v_add_f64 v[30:31], v[30:31], -v[18:19]
	v_add_f64 v[42:43], v[18:19], -v[42:43]
	v_add_f64 v[18:19], v[78:79], v[18:19]
	v_mul_f64 v[78:79], v[98:99], s[22:23]
	s_delay_alu instid0(VALU_DEP_4) | instskip(NEXT) | instid1(VALU_DEP_2)
	v_mul_f64 v[98:99], v[30:31], s[24:25]
	v_fma_f64 v[30:31], v[30:31], s[4:5], -v[78:79]
	v_mul_f64 v[16:17], v[26:27], v[14:15]
	s_delay_alu instid0(VALU_DEP_1) | instskip(SKIP_3) | instid1(VALU_DEP_3)
	v_fma_f64 v[212:213], v[24:25], v[12:13], v[16:17]
	v_mul_f64 v[12:13], v[26:27], v[12:13]
	v_add_f64 v[26:27], v[248:249], v[199:200]
	v_add_f64 v[16:17], v[226:227], -v[201:202]
	v_fma_f64 v[214:215], v[24:25], v[14:15], -v[12:13]
	v_add_f64 v[12:13], v[226:227], v[201:202]
	v_add_f64 v[14:15], v[240:241], v[203:204]
	;; [unrolled: 1-line block ×3, first 2 shown]
	v_add_f64 v[28:29], v[28:29], -v[16:17]
	v_add_f64 v[40:41], v[16:17], -v[40:41]
	v_add_f64 v[16:17], v[76:77], v[16:17]
	v_mul_f64 v[76:77], v[96:97], s[22:23]
	v_add_f64 v[58:59], v[26:27], v[14:15]
	v_add_f64 v[56:57], v[24:25], v[12:13]
	v_add_f64 v[68:69], v[24:25], -v[12:13]
	v_add_f64 v[70:71], v[26:27], -v[14:15]
	v_add_f64 v[12:13], v[12:13], -v[32:33]
	v_add_f64 v[14:15], v[14:15], -v[34:35]
	v_add_f64 v[24:25], v[32:33], -v[24:25]
	v_add_f64 v[26:27], v[34:35], -v[26:27]
	v_mul_f64 v[96:97], v[28:29], s[24:25]
	v_fma_f64 v[28:29], v[28:29], s[4:5], -v[76:77]
	v_add_f64 v[34:35], v[34:35], v[58:59]
	v_add_f64 v[32:33], v[32:33], v[56:57]
	v_mul_f64 v[12:13], v[12:13], s[26:27]
	v_mul_f64 v[14:15], v[14:15], s[26:27]
	;; [unrolled: 1-line block ×4, first 2 shown]
	v_add_f64 v[2:3], v[2:3], v[34:35]
	v_add_f64 v[0:1], v[0:1], v[32:33]
	v_fma_f64 v[24:25], v[24:25], s[8:9], v[12:13]
	v_fma_f64 v[26:27], v[26:27], s[8:9], v[14:15]
	v_fma_f64 v[56:57], v[68:69], s[14:15], -v[56:57]
	v_fma_f64 v[58:59], v[70:71], s[14:15], -v[58:59]
	;; [unrolled: 1-line block ×4, first 2 shown]
	v_fma_f64 v[68:69], v[40:41], s[18:19], v[76:77]
	v_fma_f64 v[70:71], v[42:43], s[18:19], v[78:79]
	v_fma_f64 v[40:41], v[40:41], s[10:11], v[96:97]
	v_fma_f64 v[42:43], v[42:43], s[10:11], v[98:99]
	v_fma_f64 v[96:97], v[16:17], s[2:3], v[28:29]
	v_fma_f64 v[28:29], v[18:19], s[2:3], v[30:31]
	v_add_f64 v[98:99], v[186:187], -v[218:219]
	v_fma_f64 v[34:35], v[34:35], s[20:21], v[2:3]
	v_fma_f64 v[32:33], v[32:33], s[20:21], v[0:1]
	;; [unrolled: 1-line block ×6, first 2 shown]
	v_add_f64 v[190:191], v[106:107], -v[98:99]
	v_add_f64 v[78:79], v[26:27], v[34:35]
	v_add_f64 v[76:77], v[24:25], v[32:33]
	;; [unrolled: 1-line block ×6, first 2 shown]
	v_add_f64 v[18:19], v[78:79], -v[68:69]
	v_add_f64 v[16:17], v[70:71], v[76:77]
	v_add_f64 v[24:25], v[56:57], -v[28:29]
	v_add_f64 v[26:27], v[96:97], v[58:59]
	v_add_f64 v[12:13], v[42:43], v[32:33]
	v_add_f64 v[14:15], v[34:35], -v[40:41]
	v_add_f64 v[28:29], v[28:29], v[56:57]
	v_add_f64 v[30:31], v[58:59], -v[96:97]
	v_add_f64 v[32:33], v[32:33], -v[42:43]
	v_add_f64 v[34:35], v[40:41], v[34:35]
	v_add_f64 v[40:41], v[76:77], -v[70:71]
	v_add_f64 v[42:43], v[68:69], v[78:79]
	v_add_f64 v[56:57], v[180:181], v[220:221]
	;; [unrolled: 1-line block ×5, first 2 shown]
	v_add_f64 v[96:97], v[184:185], -v[216:217]
	v_add_f64 v[68:69], v[180:181], -v[220:221]
	;; [unrolled: 1-line block ×5, first 2 shown]
	v_add_f64 v[108:109], v[76:77], v[56:57]
	v_add_f64 v[110:111], v[78:79], v[58:59]
	v_add_f64 v[180:181], v[76:77], -v[56:57]
	v_add_f64 v[182:183], v[78:79], -v[58:59]
	;; [unrolled: 1-line block ×4, first 2 shown]
	v_add_f64 v[56:57], v[104:105], v[96:97]
	v_add_f64 v[58:59], v[106:107], v[98:99]
	v_add_f64 v[188:189], v[104:105], -v[96:97]
	v_add_f64 v[96:97], v[96:97], -v[68:69]
	v_add_f64 v[98:99], v[98:99], -v[70:71]
	v_add_f64 v[104:105], v[68:69], -v[104:105]
	v_add_f64 v[106:107], v[70:71], -v[106:107]
	v_add_f64 v[100:101], v[100:101], v[108:109]
	v_add_f64 v[102:103], v[102:103], v[110:111]
	v_mul_f64 v[108:109], v[76:77], s[8:9]
	v_mul_f64 v[110:111], v[78:79], s[8:9]
	v_add_f64 v[68:69], v[56:57], v[68:69]
	v_add_f64 v[70:71], v[58:59], v[70:71]
	;; [unrolled: 1-line block ×4, first 2 shown]
	v_mul_f64 v[48:49], v[184:185], s[26:27]
	v_mul_f64 v[50:51], v[186:187], s[26:27]
	;; [unrolled: 1-line block ×6, first 2 shown]
	v_fma_f64 v[108:109], v[180:181], s[14:15], -v[108:109]
	v_fma_f64 v[110:111], v[182:183], s[14:15], -v[110:111]
	v_fma_f64 v[100:101], v[100:101], s[20:21], v[56:57]
	v_fma_f64 v[102:103], v[102:103], s[20:21], v[58:59]
	;; [unrolled: 1-line block ×4, first 2 shown]
	v_fma_f64 v[48:49], v[180:181], s[16:17], -v[48:49]
	v_fma_f64 v[50:51], v[182:183], s[16:17], -v[50:51]
	v_fma_f64 v[180:181], v[104:105], s[18:19], v[184:185]
	v_fma_f64 v[182:183], v[106:107], s[18:19], v[186:187]
	;; [unrolled: 1-line block ×4, first 2 shown]
	v_fma_f64 v[96:97], v[96:97], s[4:5], -v[184:185]
	v_fma_f64 v[98:99], v[98:99], s[4:5], -v[186:187]
	v_add_f64 v[108:109], v[108:109], v[100:101]
	v_add_f64 v[110:111], v[110:111], v[102:103]
	;; [unrolled: 1-line block ×6, first 2 shown]
	v_fma_f64 v[180:181], v[68:69], s[2:3], v[180:181]
	v_fma_f64 v[182:183], v[70:71], s[2:3], v[182:183]
	;; [unrolled: 1-line block ×6, first 2 shown]
	v_add_f64 v[78:79], v[186:187], -v[180:181]
	v_add_f64 v[76:77], v[182:183], v[184:185]
	v_add_f64 v[70:71], v[50:51], -v[188:189]
	v_add_f64 v[68:69], v[104:105], v[48:49]
	v_add_f64 v[98:99], v[102:103], v[110:111]
	v_add_f64 v[96:97], v[108:109], -v[100:101]
	v_add_f64 v[100:101], v[100:101], v[108:109]
	v_add_f64 v[102:103], v[110:111], -v[102:103]
	v_add_f64 v[104:105], v[48:49], -v[104:105]
	v_add_f64 v[106:107], v[188:189], v[50:51]
	v_add_f64 v[108:109], v[184:185], -v[182:183]
	v_add_f64 v[110:111], v[180:181], v[186:187]
	ds_store_b128 v196, v[0:3]
	ds_store_b128 v196, v[16:19] offset:784
	ds_store_b128 v196, v[12:15] offset:1568
	;; [unrolled: 1-line block ×13, first 2 shown]
	scratch_load_b32 v0, off, off offset:2728 ; 4-byte Folded Reload
	v_add_f64 v[48:49], v[168:169], v[176:177]
	v_add_f64 v[50:51], v[170:171], v[178:179]
	v_add_f64 v[168:169], v[168:169], -v[176:177]
	v_add_f64 v[170:171], v[170:171], -v[178:179]
	v_add_f64 v[176:177], v[160:161], v[172:173]
	v_add_f64 v[178:179], v[162:163], v[174:175]
	v_add_f64 v[160:161], v[160:161], -v[172:173]
	v_add_f64 v[162:163], v[162:163], -v[174:175]
	;; [unrolled: 4-line block ×4, first 2 shown]
	v_add_f64 v[48:49], v[48:49], -v[172:173]
	v_add_f64 v[50:51], v[50:51], -v[174:175]
	;; [unrolled: 1-line block ×6, first 2 shown]
	v_add_f64 v[184:185], v[140:141], v[160:161]
	v_add_f64 v[186:187], v[142:143], v[162:163]
	v_add_f64 v[160:161], v[160:161], -v[168:169]
	v_add_f64 v[162:163], v[162:163], -v[170:171]
	;; [unrolled: 1-line block ×4, first 2 shown]
	v_add_f64 v[164:165], v[172:173], v[164:165]
	v_add_f64 v[166:167], v[174:175], v[166:167]
	v_mul_f64 v[172:173], v[188:189], s[22:23]
	v_mul_f64 v[174:175], v[190:191], s[22:23]
	v_add_f64 v[168:169], v[184:185], v[168:169]
	v_add_f64 v[170:171], v[186:187], v[170:171]
	v_mul_f64 v[184:185], v[160:161], s[24:25]
	v_mul_f64 v[186:187], v[162:163], s[24:25]
	;; [unrolled: 4-line block ×3, first 2 shown]
	v_mul_f64 v[48:49], v[176:177], s[8:9]
	v_mul_f64 v[50:51], v[178:179], s[8:9]
	v_fma_f64 v[160:161], v[160:161], s[4:5], -v[172:173]
	v_fma_f64 v[162:163], v[162:163], s[4:5], -v[174:175]
	v_fma_f64 v[164:165], v[164:165], s[20:21], v[140:141]
	v_fma_f64 v[166:167], v[166:167], s[20:21], v[142:143]
	;; [unrolled: 1-line block ×4, first 2 shown]
	v_fma_f64 v[48:49], v[180:181], s[14:15], -v[48:49]
	v_fma_f64 v[50:51], v[182:183], s[14:15], -v[50:51]
	;; [unrolled: 1-line block ×4, first 2 shown]
	v_fma_f64 v[180:181], v[192:193], s[18:19], v[172:173]
	v_fma_f64 v[182:183], v[194:195], s[18:19], v[174:175]
	;; [unrolled: 1-line block ×6, first 2 shown]
	v_add_f64 v[192:193], v[176:177], v[164:165]
	v_add_f64 v[194:195], v[178:179], v[166:167]
	;; [unrolled: 1-line block ×6, first 2 shown]
	v_fma_f64 v[164:165], v[168:169], s[2:3], v[180:181]
	v_fma_f64 v[166:167], v[170:171], s[2:3], v[182:183]
	;; [unrolled: 1-line block ×4, first 2 shown]
	v_add_f64 v[180:181], v[48:49], -v[162:163]
	v_add_f64 v[182:183], v[160:161], v[50:51]
	v_add_f64 v[184:185], v[162:163], v[48:49]
	v_add_f64 v[186:187], v[50:51], -v[160:161]
	v_add_f64 v[178:179], v[194:195], -v[164:165]
	v_add_f64 v[176:177], v[166:167], v[192:193]
	v_add_f64 v[174:175], v[46:47], -v[168:169]
	v_add_f64 v[172:173], v[170:171], v[44:45]
	;; [unrolled: 2-line block ×4, first 2 shown]
	s_waitcnt vmcnt(0)
	ds_store_b128 v0, v[140:143] offset:10976
	ds_store_b128 v0, v[176:179] offset:11760
	;; [unrolled: 1-line block ×7, first 2 shown]
	scratch_load_b32 v0, off, off offset:2492 ; 4-byte Folded Reload
	v_add_f64 v[44:45], v[132:133], v[156:157]
	v_add_f64 v[46:47], v[136:137], v[158:159]
	v_add_f64 v[48:49], v[132:133], -v[156:157]
	v_add_f64 v[50:51], v[136:137], -v[158:159]
	v_add_f64 v[132:133], v[144:145], v[152:153]
	v_add_f64 v[136:137], v[146:147], v[154:155]
	v_add_f64 v[144:145], v[144:145], -v[152:153]
	v_add_f64 v[146:147], v[146:147], -v[154:155]
	;; [unrolled: 4-line block ×4, first 2 shown]
	v_add_f64 v[44:45], v[44:45], -v[152:153]
	v_add_f64 v[46:47], v[46:47], -v[154:155]
	;; [unrolled: 1-line block ×6, first 2 shown]
	v_add_f64 v[160:161], v[134:135], v[144:145]
	v_add_f64 v[162:163], v[138:139], v[146:147]
	v_add_f64 v[168:169], v[144:145], -v[48:49]
	v_add_f64 v[170:171], v[146:147], -v[50:51]
	;; [unrolled: 1-line block ×4, first 2 shown]
	v_add_f64 v[148:149], v[152:153], v[148:149]
	v_add_f64 v[150:151], v[154:155], v[150:151]
	v_mul_f64 v[152:153], v[164:165], s[22:23]
	v_mul_f64 v[154:155], v[166:167], s[22:23]
	v_add_f64 v[48:49], v[160:161], v[48:49]
	v_add_f64 v[50:51], v[162:163], v[50:51]
	v_mul_f64 v[160:161], v[168:169], s[24:25]
	v_mul_f64 v[162:163], v[170:171], s[24:25]
	v_add_f64 v[144:145], v[36:37], v[148:149]
	v_add_f64 v[146:147], v[38:39], v[150:151]
	v_mul_f64 v[36:37], v[44:45], s[26:27]
	v_mul_f64 v[38:39], v[46:47], s[26:27]
	v_mul_f64 v[44:45], v[132:133], s[8:9]
	v_mul_f64 v[46:47], v[136:137], s[8:9]
	v_fma_f64 v[148:149], v[148:149], s[20:21], v[144:145]
	v_fma_f64 v[150:151], v[150:151], s[20:21], v[146:147]
	;; [unrolled: 1-line block ×4, first 2 shown]
	v_fma_f64 v[44:45], v[156:157], s[14:15], -v[44:45]
	v_fma_f64 v[46:47], v[158:159], s[14:15], -v[46:47]
	v_fma_f64 v[36:37], v[156:157], s[16:17], -v[36:37]
	v_fma_f64 v[38:39], v[158:159], s[16:17], -v[38:39]
	v_fma_f64 v[156:157], v[134:135], s[18:19], v[152:153]
	v_fma_f64 v[158:159], v[138:139], s[18:19], v[154:155]
	v_fma_f64 v[152:153], v[168:169], s[4:5], -v[152:153]
	v_fma_f64 v[154:155], v[170:171], s[4:5], -v[154:155]
	v_fma_f64 v[134:135], v[134:135], s[10:11], v[160:161]
	v_fma_f64 v[138:139], v[138:139], s[10:11], v[162:163]
	v_add_f64 v[132:133], v[132:133], v[148:149]
	v_add_f64 v[136:137], v[136:137], v[150:151]
	;; [unrolled: 1-line block ×6, first 2 shown]
	v_fma_f64 v[150:151], v[48:49], s[2:3], v[156:157]
	v_fma_f64 v[148:149], v[50:51], s[2:3], v[158:159]
	;; [unrolled: 1-line block ×6, first 2 shown]
	v_add_f64 v[170:171], v[136:137], -v[150:151]
	v_add_f64 v[168:169], v[148:149], v[132:133]
	v_add_f64 v[162:163], v[152:153], v[46:47]
	v_add_f64 v[160:161], v[44:45], -v[154:155]
	v_add_f64 v[166:167], v[38:39], -v[48:49]
	v_add_f64 v[164:165], v[50:51], v[36:37]
	v_add_f64 v[156:157], v[154:155], v[44:45]
	v_add_f64 v[158:159], v[46:47], -v[152:153]
	v_add_f64 v[152:153], v[36:37], -v[50:51]
	v_add_f64 v[154:155], v[48:49], v[38:39]
	v_add_f64 v[148:149], v[132:133], -v[148:149]
	v_add_f64 v[150:151], v[150:151], v[136:137]
	s_waitcnt vmcnt(0)
	ds_store_b128 v0, v[144:147] offset:16464
	ds_store_b128 v0, v[168:171] offset:17248
	;; [unrolled: 1-line block ×7, first 2 shown]
	scratch_load_b32 v0, off, off offset:1824 ; 4-byte Folded Reload
	v_add_f64 v[36:37], v[112:113], v[128:129]
	v_add_f64 v[38:39], v[114:115], v[130:131]
	v_add_f64 v[48:49], v[116:117], v[124:125]
	v_add_f64 v[50:51], v[92:93], v[126:127]
	v_add_f64 v[44:45], v[112:113], -v[128:129]
	v_add_f64 v[46:47], v[114:115], -v[130:131]
	;; [unrolled: 1-line block ×4, first 2 shown]
	v_add_f64 v[114:115], v[94:95], v[120:121]
	v_add_f64 v[116:117], v[118:119], v[122:123]
	v_add_f64 v[94:95], v[120:121], -v[94:95]
	v_add_f64 v[118:119], v[122:123], -v[118:119]
	v_add_f64 v[120:121], v[48:49], v[36:37]
	v_add_f64 v[122:123], v[50:51], v[38:39]
	v_add_f64 v[124:125], v[48:49], -v[36:37]
	v_add_f64 v[126:127], v[50:51], -v[38:39]
	;; [unrolled: 1-line block ×7, first 2 shown]
	v_add_f64 v[128:129], v[94:95], v[112:113]
	v_add_f64 v[132:133], v[94:95], -v[112:113]
	v_add_f64 v[134:135], v[118:119], -v[92:93]
	v_add_f64 v[130:131], v[118:119], v[92:93]
	v_add_f64 v[92:93], v[92:93], -v[46:47]
	v_add_f64 v[94:95], v[44:45], -v[94:95]
	;; [unrolled: 1-line block ×3, first 2 shown]
	v_add_f64 v[120:121], v[114:115], v[120:121]
	v_add_f64 v[116:117], v[116:117], v[122:123]
	;; [unrolled: 1-line block ×3, first 2 shown]
	v_mul_f64 v[122:123], v[132:133], s[22:23]
	v_mul_f64 v[128:129], v[134:135], s[22:23]
	v_add_f64 v[46:47], v[130:131], v[46:47]
	v_mul_f64 v[130:131], v[136:137], s[24:25]
	v_mul_f64 v[132:133], v[92:93], s[24:25]
	v_add_f64 v[112:113], v[20:21], v[120:121]
	v_add_f64 v[114:115], v[22:23], v[116:117]
	v_mul_f64 v[20:21], v[36:37], s[26:27]
	v_mul_f64 v[22:23], v[38:39], s[26:27]
	;; [unrolled: 1-line block ×4, first 2 shown]
	v_fma_f64 v[92:93], v[92:93], s[4:5], -v[128:129]
	v_fma_f64 v[120:121], v[120:121], s[20:21], v[112:113]
	v_fma_f64 v[116:117], v[116:117], s[20:21], v[114:115]
	;; [unrolled: 1-line block ×4, first 2 shown]
	v_fma_f64 v[36:37], v[124:125], s[14:15], -v[36:37]
	v_fma_f64 v[38:39], v[126:127], s[14:15], -v[38:39]
	;; [unrolled: 1-line block ×4, first 2 shown]
	v_fma_f64 v[124:125], v[94:95], s[18:19], v[122:123]
	v_fma_f64 v[126:127], v[118:119], s[18:19], v[128:129]
	v_fma_f64 v[122:123], v[136:137], s[4:5], -v[122:123]
	v_fma_f64 v[94:95], v[94:95], s[10:11], v[130:131]
	v_fma_f64 v[118:119], v[118:119], s[10:11], v[132:133]
	;; [unrolled: 1-line block ×3, first 2 shown]
	v_add_f64 v[48:49], v[48:49], v[120:121]
	v_add_f64 v[50:51], v[50:51], v[116:117]
	v_add_f64 v[36:37], v[36:37], v[120:121]
	v_add_f64 v[38:39], v[38:39], v[116:117]
	v_add_f64 v[20:21], v[20:21], v[120:121]
	v_add_f64 v[22:23], v[22:23], v[116:117]
	v_fma_f64 v[197:198], v[44:45], s[2:3], v[124:125]
	v_fma_f64 v[116:117], v[46:47], s[2:3], v[126:127]
	;; [unrolled: 1-line block ×5, first 2 shown]
	v_add_f64 v[128:129], v[36:37], -v[92:93]
	v_add_f64 v[124:125], v[92:93], v[36:37]
	v_add_f64 v[36:37], v[80:81], -v[88:89]
	v_add_f64 v[138:139], v[50:51], -v[197:198]
	v_add_f64 v[136:137], v[116:117], v[48:49]
	v_add_f64 v[130:131], v[120:121], v[38:39]
	v_add_f64 v[134:135], v[22:23], -v[44:45]
	v_add_f64 v[132:133], v[46:47], v[20:21]
	v_add_f64 v[126:127], v[38:39], -v[120:121]
	v_add_f64 v[120:121], v[20:21], -v[46:47]
	v_add_f64 v[122:123], v[44:45], v[22:23]
	v_add_f64 v[116:117], v[48:49], -v[116:117]
	v_add_f64 v[118:119], v[197:198], v[50:51]
	s_waitcnt vmcnt(0)
	ds_store_b128 v0, v[112:115] offset:21952
	ds_store_b128 v0, v[136:139] offset:22736
	;; [unrolled: 1-line block ×7, first 2 shown]
	scratch_load_b32 v0, off, off offset:1248 ; 4-byte Folded Reload
	v_add_f64 v[20:21], v[80:81], v[88:89]
	v_add_f64 v[22:23], v[72:73], v[90:91]
	;; [unrolled: 1-line block ×4, first 2 shown]
	v_add_f64 v[38:39], v[72:73], -v[90:91]
	v_add_f64 v[48:49], v[74:75], -v[62:63]
	;; [unrolled: 1-line block ×3, first 2 shown]
	v_add_f64 v[62:63], v[84:85], v[66:67]
	v_add_f64 v[72:73], v[64:65], v[60:61]
	v_add_f64 v[66:67], v[66:67], -v[84:85]
	v_add_f64 v[60:61], v[60:61], -v[64:65]
	v_add_f64 v[64:65], v[44:45], v[20:21]
	v_add_f64 v[74:75], v[46:47], v[22:23]
	v_add_f64 v[80:81], v[44:45], -v[20:21]
	v_add_f64 v[82:83], v[46:47], -v[22:23]
	;; [unrolled: 1-line block ×6, first 2 shown]
	v_add_f64 v[84:85], v[66:67], v[48:49]
	v_add_f64 v[88:89], v[66:67], -v[48:49]
	v_add_f64 v[90:91], v[60:61], -v[50:51]
	v_add_f64 v[86:87], v[60:61], v[50:51]
	v_add_f64 v[48:49], v[48:49], -v[36:37]
	v_add_f64 v[50:51], v[50:51], -v[38:39]
	;; [unrolled: 1-line block ×4, first 2 shown]
	v_add_f64 v[64:65], v[62:63], v[64:65]
	v_add_f64 v[72:73], v[72:73], v[74:75]
	;; [unrolled: 1-line block ×3, first 2 shown]
	v_mul_f64 v[74:75], v[88:89], s[22:23]
	v_mul_f64 v[84:85], v[90:91], s[22:23]
	v_add_f64 v[38:39], v[86:87], v[38:39]
	v_mul_f64 v[86:87], v[48:49], s[24:25]
	v_mul_f64 v[88:89], v[50:51], s[24:25]
	v_add_f64 v[60:61], v[8:9], v[64:65]
	v_add_f64 v[62:63], v[10:11], v[72:73]
	v_mul_f64 v[8:9], v[20:21], s[26:27]
	v_mul_f64 v[10:11], v[22:23], s[26:27]
	v_mul_f64 v[20:21], v[44:45], s[8:9]
	v_mul_f64 v[22:23], v[46:47], s[8:9]
	v_fma_f64 v[48:49], v[48:49], s[4:5], -v[74:75]
	v_fma_f64 v[50:51], v[50:51], s[4:5], -v[84:85]
	v_fma_f64 v[64:65], v[64:65], s[20:21], v[60:61]
	v_fma_f64 v[72:73], v[72:73], s[20:21], v[62:63]
	;; [unrolled: 1-line block ×4, first 2 shown]
	v_fma_f64 v[20:21], v[80:81], s[14:15], -v[20:21]
	v_fma_f64 v[22:23], v[82:83], s[14:15], -v[22:23]
	;; [unrolled: 1-line block ×4, first 2 shown]
	v_fma_f64 v[80:81], v[66:67], s[18:19], v[74:75]
	v_fma_f64 v[82:83], v[92:93], s[18:19], v[84:85]
	;; [unrolled: 1-line block ×6, first 2 shown]
	v_add_f64 v[44:45], v[44:45], v[64:65]
	v_add_f64 v[46:47], v[46:47], v[72:73]
	;; [unrolled: 1-line block ×6, first 2 shown]
	v_fma_f64 v[197:198], v[36:37], s[2:3], v[80:81]
	v_fma_f64 v[64:65], v[38:39], s[2:3], v[82:83]
	;; [unrolled: 1-line block ×4, first 2 shown]
	v_add_f64 v[84:85], v[20:21], -v[50:51]
	v_add_f64 v[86:87], v[48:49], v[22:23]
	v_add_f64 v[80:81], v[50:51], v[20:21]
	v_add_f64 v[82:83], v[22:23], -v[48:49]
	v_add_f64 v[94:95], v[46:47], -v[197:198]
	v_add_f64 v[92:93], v[64:65], v[44:45]
	v_add_f64 v[90:91], v[10:11], -v[36:37]
	v_add_f64 v[88:89], v[38:39], v[8:9]
	;; [unrolled: 2-line block ×4, first 2 shown]
	s_waitcnt vmcnt(0)
	ds_store_b128 v0, v[60:63] offset:27440
	ds_store_b128 v0, v[92:95] offset:28224
	;; [unrolled: 1-line block ×7, first 2 shown]
	scratch_load_b32 v0, off, off offset:796 ; 4-byte Folded Reload
	v_add_f64 v[8:9], v[52:53], v[212:213]
	v_add_f64 v[10:11], v[54:55], v[214:215]
	;; [unrolled: 1-line block ×4, first 2 shown]
	v_add_f64 v[20:21], v[52:53], -v[212:213]
	v_add_f64 v[22:23], v[54:55], -v[214:215]
	;; [unrolled: 1-line block ×4, first 2 shown]
	v_add_f64 v[48:49], v[232:233], v[236:237]
	v_add_f64 v[50:51], v[234:235], v[206:207]
	v_add_f64 v[52:53], v[236:237], -v[232:233]
	v_add_f64 v[54:55], v[206:207], -v[234:235]
	v_add_f64 v[197:198], v[36:37], v[8:9]
	v_add_f64 v[199:200], v[38:39], v[10:11]
	v_add_f64 v[201:202], v[36:37], -v[8:9]
	v_add_f64 v[203:204], v[38:39], -v[10:11]
	;; [unrolled: 1-line block ×6, first 2 shown]
	v_add_f64 v[205:206], v[52:53], v[44:45]
	v_add_f64 v[207:208], v[54:55], v[46:47]
	v_add_f64 v[209:210], v[52:53], -v[44:45]
	v_add_f64 v[211:212], v[54:55], -v[46:47]
	;; [unrolled: 1-line block ×6, first 2 shown]
	v_add_f64 v[48:49], v[48:49], v[197:198]
	v_add_f64 v[50:51], v[50:51], v[199:200]
	v_mul_f64 v[8:9], v[8:9], s[26:27]
	v_mul_f64 v[10:11], v[10:11], s[26:27]
	;; [unrolled: 1-line block ×4, first 2 shown]
	v_add_f64 v[20:21], v[205:206], v[20:21]
	v_add_f64 v[22:23], v[207:208], v[22:23]
	v_mul_f64 v[205:206], v[209:210], s[22:23]
	v_mul_f64 v[207:208], v[211:212], s[22:23]
	;; [unrolled: 1-line block ×4, first 2 shown]
	v_add_f64 v[4:5], v[4:5], v[48:49]
	v_add_f64 v[6:7], v[6:7], v[50:51]
	v_fma_f64 v[36:37], v[36:37], s[8:9], v[8:9]
	v_fma_f64 v[38:39], v[38:39], s[8:9], v[10:11]
	v_fma_f64 v[197:198], v[201:202], s[14:15], -v[197:198]
	v_fma_f64 v[199:200], v[203:204], s[14:15], -v[199:200]
	;; [unrolled: 1-line block ×4, first 2 shown]
	v_fma_f64 v[201:202], v[52:53], s[18:19], v[205:206]
	v_fma_f64 v[203:204], v[54:55], s[18:19], v[207:208]
	v_fma_f64 v[44:45], v[44:45], s[4:5], -v[205:206]
	v_fma_f64 v[52:53], v[52:53], s[10:11], v[209:210]
	v_fma_f64 v[54:55], v[54:55], s[10:11], v[211:212]
	v_fma_f64 v[46:47], v[46:47], s[4:5], -v[207:208]
	v_fma_f64 v[48:49], v[48:49], s[20:21], v[4:5]
	v_fma_f64 v[50:51], v[50:51], s[20:21], v[6:7]
	;; [unrolled: 1-line block ×3, first 2 shown]
	s_delay_alu instid0(VALU_DEP_3) | instskip(NEXT) | instid1(VALU_DEP_3)
	v_add_f64 v[205:206], v[36:37], v[48:49]
	v_add_f64 v[207:208], v[38:39], v[50:51]
	;; [unrolled: 1-line block ×4, first 2 shown]
	v_fma_f64 v[197:198], v[20:21], s[2:3], v[201:202]
	v_fma_f64 v[199:200], v[22:23], s[2:3], v[203:204]
	v_add_f64 v[8:9], v[8:9], v[48:49]
	v_add_f64 v[10:11], v[10:11], v[50:51]
	v_fma_f64 v[201:202], v[20:21], s[2:3], v[44:45]
	v_fma_f64 v[20:21], v[22:23], s[2:3], v[54:55]
	;; [unrolled: 1-line block ×3, first 2 shown]
	v_add_f64 v[54:55], v[207:208], -v[197:198]
	v_add_f64 v[52:53], v[199:200], v[205:206]
	v_add_f64 v[50:51], v[10:11], -v[209:210]
	v_add_f64 v[46:47], v[201:202], v[38:39]
	v_add_f64 v[48:49], v[20:21], v[8:9]
	v_add_f64 v[44:45], v[36:37], -v[203:204]
	v_add_f64 v[36:37], v[203:204], v[36:37]
	v_add_f64 v[38:39], v[38:39], -v[201:202]
	v_add_f64 v[20:21], v[8:9], -v[20:21]
	v_add_f64 v[22:23], v[209:210], v[10:11]
	v_add_f64 v[8:9], v[205:206], -v[199:200]
	v_add_f64 v[10:11], v[197:198], v[207:208]
	s_waitcnt vmcnt(0)
	ds_store_b128 v0, v[4:7] offset:32928
	ds_store_b128 v0, v[52:55] offset:33712
	ds_store_b128 v0, v[48:51] offset:34496
	ds_store_b128 v0, v[44:47] offset:35280
	ds_store_b128 v0, v[36:39] offset:36064
	ds_store_b128 v0, v[20:23] offset:36848
	ds_store_b128 v0, v[8:11] offset:37632
	s_waitcnt lgkmcnt(0)
	s_barrier
	buffer_gl0_inv
	ds_load_b128 v[199:202], v196
	ds_load_b128 v[192:195], v196 offset:5488
	ds_load_b128 v[188:191], v196 offset:10976
	;; [unrolled: 1-line block ×21, first 2 shown]
	s_waitcnt lgkmcnt(0)
	scratch_store_b128 off, v[0:3], off offset:940 ; 16-byte Folded Spill
	ds_load_b128 v[120:123], v196 offset:7840
	ds_load_b128 v[116:119], v196 offset:13328
	ds_load_b128 v[112:115], v196 offset:18816
	ds_load_b128 v[108:111], v196 offset:24304
	ds_load_b128 v[104:107], v196 offset:29792
	ds_load_b128 v[100:103], v196 offset:35280
	ds_load_b128 v[0:3], v196 offset:3136
	s_waitcnt lgkmcnt(0)
	scratch_store_b128 off, v[0:3], off offset:924 ; 16-byte Folded Spill
	ds_load_b128 v[96:99], v196 offset:8624
	ds_load_b128 v[92:95], v196 offset:14112
	ds_load_b128 v[88:91], v196 offset:19600
	ds_load_b128 v[84:87], v196 offset:25088
	ds_load_b128 v[80:83], v196 offset:30576
	ds_load_b128 v[76:79], v196 offset:36064
	ds_load_b128 v[0:3], v196 offset:3920
	;; [unrolled: 9-line block ×3, first 2 shown]
	s_waitcnt lgkmcnt(0)
	scratch_store_b128 off, v[0:3], off offset:796 ; 16-byte Folded Spill
	ds_load_b128 v[36:39], v196 offset:10192
	ds_load_b128 v[28:31], v196 offset:15680
	;; [unrolled: 1-line block ×6, first 2 shown]
	s_clause 0x1
	scratch_load_b128 v[0:3], off, off offset:812
	scratch_load_b128 v[68:71], off, off offset:876
	s_waitcnt vmcnt(1)
	v_mul_f64 v[197:198], v[2:3], v[194:195]
	s_waitcnt vmcnt(0)
	v_mul_f64 v[10:11], v[70:71], v[176:177]
	s_delay_alu instid0(VALU_DEP_2) | instskip(SKIP_1) | instid1(VALU_DEP_3)
	v_fma_f64 v[248:249], v[0:1], v[192:193], v[197:198]
	v_mul_f64 v[192:193], v[2:3], v[192:193]
	v_fma_f64 v[10:11], v[68:69], v[178:179], -v[10:11]
	s_delay_alu instid0(VALU_DEP_2) | instskip(SKIP_3) | instid1(VALU_DEP_1)
	v_fma_f64 v[250:251], v[0:1], v[194:195], -v[192:193]
	scratch_load_b128 v[0:3], off, off offset:828 ; 16-byte Folded Reload
	s_waitcnt vmcnt(0)
	v_mul_f64 v[192:193], v[2:3], v[190:191]
	v_fma_f64 v[252:253], v[0:1], v[188:189], v[192:193]
	v_mul_f64 v[188:189], v[2:3], v[188:189]
	s_delay_alu instid0(VALU_DEP_1) | instskip(SKIP_4) | instid1(VALU_DEP_2)
	v_fma_f64 v[254:255], v[0:1], v[190:191], -v[188:189]
	scratch_load_b128 v[0:3], off, off offset:844 ; 16-byte Folded Reload
	s_waitcnt vmcnt(0)
	v_mul_f64 v[188:189], v[2:3], v[186:187]
	v_mul_f64 v[2:3], v[2:3], v[184:185]
	v_fma_f64 v[32:33], v[0:1], v[184:185], v[188:189]
	s_delay_alu instid0(VALU_DEP_2) | instskip(SKIP_4) | instid1(VALU_DEP_2)
	v_fma_f64 v[8:9], v[0:1], v[186:187], -v[2:3]
	scratch_load_b128 v[0:3], off, off offset:860 ; 16-byte Folded Reload
	s_waitcnt vmcnt(0)
	v_mul_f64 v[184:185], v[2:3], v[182:183]
	v_mul_f64 v[6:7], v[2:3], v[180:181]
	v_fma_f64 v[4:5], v[0:1], v[180:181], v[184:185]
	v_mul_f64 v[180:181], v[70:71], v[178:179]
	s_delay_alu instid0(VALU_DEP_3) | instskip(NEXT) | instid1(VALU_DEP_2)
	v_fma_f64 v[6:7], v[0:1], v[182:183], -v[6:7]
	v_fma_f64 v[2:3], v[68:69], v[176:177], v[180:181]
	scratch_load_b128 v[68:71], off, off offset:892 ; 16-byte Folded Reload
	s_waitcnt vmcnt(0)
	v_mul_f64 v[176:177], v[70:71], v[170:171]
	v_mul_f64 v[34:35], v[70:71], v[168:169]
	s_delay_alu instid0(VALU_DEP_2) | instskip(NEXT) | instid1(VALU_DEP_2)
	v_fma_f64 v[0:1], v[68:69], v[168:169], v[176:177]
	v_fma_f64 v[70:71], v[68:69], v[170:171], -v[34:35]
	scratch_load_b128 v[168:171], off, off offset:1020 ; 16-byte Folded Reload
	s_waitcnt vmcnt(0)
	v_mul_f64 v[34:35], v[170:171], v[174:175]
	s_delay_alu instid0(VALU_DEP_1) | instskip(SKIP_1) | instid1(VALU_DEP_1)
	v_fma_f64 v[234:235], v[168:169], v[172:173], v[34:35]
	v_mul_f64 v[34:35], v[170:171], v[172:173]
	v_fma_f64 v[236:237], v[168:169], v[174:175], -v[34:35]
	scratch_load_b128 v[168:171], off, off offset:1036 ; 16-byte Folded Reload
	s_waitcnt vmcnt(0)
	v_mul_f64 v[34:35], v[170:171], v[166:167]
	s_delay_alu instid0(VALU_DEP_1) | instskip(SKIP_1) | instid1(VALU_DEP_1)
	v_fma_f64 v[226:227], v[168:169], v[164:165], v[34:35]
	v_mul_f64 v[34:35], v[170:171], v[164:165]
	;; [unrolled: 7-line block ×18, first 2 shown]
	v_fma_f64 v[100:101], v[124:125], v[102:103], -v[100:101]
	scratch_load_b128 v[124:127], off, off offset:1808 ; 16-byte Folded Reload
	s_waitcnt vmcnt(0)
	v_mul_f64 v[102:103], v[126:127], v[98:99]
	s_delay_alu instid0(VALU_DEP_1) | instskip(SKIP_2) | instid1(VALU_DEP_2)
	v_fma_f64 v[136:137], v[124:125], v[96:97], v[102:103]
	v_mul_f64 v[96:97], v[126:127], v[96:97]
	v_add_f64 v[102:103], v[112:113], v[108:109]
	v_fma_f64 v[138:139], v[124:125], v[98:99], -v[96:97]
	scratch_load_b128 v[124:127], off, off offset:1828 ; 16-byte Folded Reload
	s_waitcnt vmcnt(0)
	v_mul_f64 v[96:97], v[126:127], v[94:95]
	s_delay_alu instid0(VALU_DEP_1) | instskip(SKIP_1) | instid1(VALU_DEP_1)
	v_fma_f64 v[128:129], v[124:125], v[92:93], v[96:97]
	v_mul_f64 v[92:93], v[126:127], v[92:93]
	v_fma_f64 v[130:131], v[124:125], v[94:95], -v[92:93]
	scratch_load_b128 v[94:97], off, off offset:1860 ; 16-byte Folded Reload
	s_waitcnt vmcnt(0)
	v_mul_f64 v[92:93], v[96:97], v[90:91]
	s_delay_alu instid0(VALU_DEP_1) | instskip(SKIP_1) | instid1(VALU_DEP_1)
	v_fma_f64 v[124:125], v[94:95], v[88:89], v[92:93]
	v_mul_f64 v[88:89], v[96:97], v[88:89]
	v_fma_f64 v[126:127], v[94:95], v[90:91], -v[88:89]
	scratch_load_b128 v[90:93], off, off offset:1876 ; 16-byte Folded Reload
	s_waitcnt vmcnt(0)
	v_mul_f64 v[88:89], v[92:93], v[86:87]
	s_delay_alu instid0(VALU_DEP_1) | instskip(SKIP_1) | instid1(VALU_DEP_1)
	v_fma_f64 v[132:133], v[90:91], v[84:85], v[88:89]
	v_mul_f64 v[84:85], v[92:93], v[84:85]
	v_fma_f64 v[134:135], v[90:91], v[86:87], -v[84:85]
	scratch_load_b128 v[86:89], off, off offset:1956 ; 16-byte Folded Reload
	s_waitcnt vmcnt(0)
	v_mul_f64 v[84:85], v[88:89], v[82:83]
	s_delay_alu instid0(VALU_DEP_1) | instskip(SKIP_1) | instid1(VALU_DEP_1)
	v_fma_f64 v[140:141], v[86:87], v[80:81], v[84:85]
	v_mul_f64 v[80:81], v[88:89], v[80:81]
	v_fma_f64 v[142:143], v[86:87], v[82:83], -v[80:81]
	scratch_load_b128 v[82:85], off, off offset:1988 ; 16-byte Folded Reload
	s_waitcnt vmcnt(0)
	v_mul_f64 v[80:81], v[84:85], v[78:79]
	s_delay_alu instid0(VALU_DEP_1) | instskip(SKIP_1) | instid1(VALU_DEP_1)
	v_fma_f64 v[144:145], v[82:83], v[76:77], v[80:81]
	v_mul_f64 v[76:77], v[84:85], v[76:77]
	v_fma_f64 v[146:147], v[82:83], v[78:79], -v[76:77]
	scratch_load_b128 v[78:81], off, off offset:2100 ; 16-byte Folded Reload
	v_add_f64 v[82:83], v[208:209], -v[197:198]
	s_waitcnt vmcnt(0)
	v_mul_f64 v[76:77], v[80:81], v[66:67]
	s_delay_alu instid0(VALU_DEP_1) | instskip(SKIP_2) | instid1(VALU_DEP_2)
	v_fma_f64 v[160:161], v[78:79], v[64:65], v[76:77]
	v_mul_f64 v[64:65], v[80:81], v[64:65]
	v_add_f64 v[80:81], v[197:198], v[208:209]
	v_fma_f64 v[162:163], v[78:79], v[66:67], -v[64:65]
	scratch_load_b128 v[76:79], off, off offset:2148 ; 16-byte Folded Reload
	s_waitcnt vmcnt(0)
	v_mul_f64 v[64:65], v[78:79], v[62:63]
	s_delay_alu instid0(VALU_DEP_1) | instskip(SKIP_1) | instid1(VALU_DEP_1)
	v_fma_f64 v[152:153], v[76:77], v[60:61], v[64:65]
	v_mul_f64 v[60:61], v[78:79], v[60:61]
	v_fma_f64 v[154:155], v[76:77], v[62:63], -v[60:61]
	scratch_load_b128 v[62:65], off, off offset:2164 ; 16-byte Folded Reload
	s_waitcnt vmcnt(0)
	v_mul_f64 v[60:61], v[64:65], v[58:59]
	s_delay_alu instid0(VALU_DEP_1) | instskip(SKIP_1) | instid1(VALU_DEP_1)
	v_fma_f64 v[148:149], v[62:63], v[56:57], v[60:61]
	v_mul_f64 v[56:57], v[64:65], v[56:57]
	;; [unrolled: 7-line block ×3, first 2 shown]
	v_fma_f64 v[158:159], v[58:59], v[54:55], -v[52:53]
	scratch_load_b128 v[54:57], off, off offset:2196 ; 16-byte Folded Reload
	s_waitcnt vmcnt(0)
	v_mul_f64 v[52:53], v[56:57], v[50:51]
	s_delay_alu instid0(VALU_DEP_1) | instskip(SKIP_2) | instid1(VALU_DEP_2)
	v_fma_f64 v[164:165], v[54:55], v[48:49], v[52:53]
	v_mul_f64 v[48:49], v[56:57], v[48:49]
	v_add_f64 v[56:57], v[232:233], -v[224:225]
	v_fma_f64 v[166:167], v[54:55], v[50:51], -v[48:49]
	scratch_load_b128 v[50:53], off, off offset:2212 ; 16-byte Folded Reload
	v_add_f64 v[54:55], v[230:231], -v[222:223]
	s_waitcnt vmcnt(0)
	v_mul_f64 v[48:49], v[52:53], v[46:47]
	s_delay_alu instid0(VALU_DEP_1) | instskip(SKIP_1) | instid1(VALU_DEP_1)
	v_fma_f64 v[168:169], v[50:51], v[44:45], v[48:49]
	v_mul_f64 v[44:45], v[52:53], v[44:45]
	v_fma_f64 v[170:171], v[50:51], v[46:47], -v[44:45]
	scratch_load_b128 v[46:49], off, off offset:2332 ; 16-byte Folded Reload
	s_waitcnt vmcnt(0) lgkmcnt(5)
	v_mul_f64 v[44:45], v[48:49], v[38:39]
	s_delay_alu instid0(VALU_DEP_1) | instskip(SKIP_1) | instid1(VALU_DEP_1)
	v_fma_f64 v[184:185], v[46:47], v[36:37], v[44:45]
	v_mul_f64 v[36:37], v[48:49], v[36:37]
	v_fma_f64 v[186:187], v[46:47], v[38:39], -v[36:37]
	scratch_load_b128 v[44:47], off, off offset:2348 ; 16-byte Folded Reload
	s_waitcnt vmcnt(0) lgkmcnt(4)
	v_mul_f64 v[36:37], v[46:47], v[30:31]
	s_delay_alu instid0(VALU_DEP_1) | instskip(SKIP_2) | instid1(VALU_DEP_1)
	v_fma_f64 v[180:181], v[44:45], v[28:29], v[36:37]
	scratch_load_b128 v[36:39], off, off offset:2364 ; 16-byte Folded Reload
	v_mul_f64 v[28:29], v[46:47], v[28:29]
	v_fma_f64 v[182:183], v[44:45], v[30:31], -v[28:29]
	s_waitcnt vmcnt(0) lgkmcnt(3)
	v_mul_f64 v[28:29], v[38:39], v[26:27]
	s_delay_alu instid0(VALU_DEP_1) | instskip(SKIP_1) | instid1(VALU_DEP_1)
	v_fma_f64 v[172:173], v[36:37], v[24:25], v[28:29]
	v_mul_f64 v[24:25], v[38:39], v[24:25]
	v_fma_f64 v[174:175], v[36:37], v[26:27], -v[24:25]
	scratch_load_b128 v[26:29], off, off offset:2380 ; 16-byte Folded Reload
	s_waitcnt vmcnt(0) lgkmcnt(2)
	v_mul_f64 v[24:25], v[28:29], v[22:23]
	s_delay_alu instid0(VALU_DEP_1) | instskip(SKIP_1) | instid1(VALU_DEP_1)
	v_fma_f64 v[176:177], v[26:27], v[20:21], v[24:25]
	v_mul_f64 v[20:21], v[28:29], v[20:21]
	v_fma_f64 v[178:179], v[26:27], v[22:23], -v[20:21]
	scratch_load_b128 v[22:25], off, off offset:2396 ; 16-byte Folded Reload
	s_waitcnt vmcnt(0) lgkmcnt(1)
	v_mul_f64 v[20:21], v[24:25], v[18:19]
	s_delay_alu instid0(VALU_DEP_1) | instskip(SKIP_3) | instid1(VALU_DEP_3)
	v_fma_f64 v[188:189], v[22:23], v[16:17], v[20:21]
	v_mul_f64 v[16:17], v[24:25], v[16:17]
	v_add_f64 v[24:25], v[8:9], v[6:7]
	v_add_f64 v[6:7], v[6:7], -v[8:9]
	v_fma_f64 v[190:191], v[22:23], v[18:19], -v[16:17]
	scratch_load_b128 v[18:21], off, off offset:2412 ; 16-byte Folded Reload
	v_add_f64 v[22:23], v[32:33], v[4:5]
	v_add_f64 v[4:5], v[4:5], -v[32:33]
	s_waitcnt vmcnt(0) lgkmcnt(0)
	v_mul_f64 v[16:17], v[20:21], v[14:15]
	s_delay_alu instid0(VALU_DEP_1) | instskip(SKIP_4) | instid1(VALU_DEP_4)
	v_fma_f64 v[192:193], v[18:19], v[12:13], v[16:17]
	v_mul_f64 v[12:13], v[20:21], v[12:13]
	v_add_f64 v[20:21], v[254:255], v[10:11]
	v_add_f64 v[10:11], v[254:255], -v[10:11]
	v_add_f64 v[16:17], v[250:251], -v[70:71]
	v_fma_f64 v[194:195], v[18:19], v[14:15], -v[12:13]
	v_add_f64 v[12:13], v[248:249], v[0:1]
	v_add_f64 v[14:15], v[250:251], v[70:71]
	;; [unrolled: 1-line block ×3, first 2 shown]
	v_add_f64 v[0:1], v[248:249], -v[0:1]
	v_add_f64 v[2:3], v[252:253], -v[2:3]
	v_add_f64 v[36:37], v[6:7], v[10:11]
	v_add_f64 v[44:45], v[6:7], -v[10:11]
	v_add_f64 v[6:7], v[16:17], -v[6:7]
	;; [unrolled: 1-line block ×3, first 2 shown]
	v_add_f64 v[26:27], v[20:21], v[14:15]
	v_add_f64 v[8:9], v[18:19], v[12:13]
	v_add_f64 v[28:29], v[18:19], -v[12:13]
	v_add_f64 v[30:31], v[20:21], -v[14:15]
	;; [unrolled: 1-line block ×6, first 2 shown]
	v_add_f64 v[32:33], v[4:5], v[2:3]
	v_add_f64 v[38:39], v[4:5], -v[2:3]
	v_add_f64 v[2:3], v[2:3], -v[0:1]
	;; [unrolled: 1-line block ×3, first 2 shown]
	v_add_f64 v[16:17], v[36:37], v[16:17]
	v_mul_f64 v[48:49], v[46:47], s[24:25]
	v_add_f64 v[24:25], v[24:25], v[26:27]
	v_add_f64 v[22:23], v[22:23], v[8:9]
	v_mul_f64 v[12:13], v[12:13], s[26:27]
	v_mul_f64 v[14:15], v[14:15], s[26:27]
	;; [unrolled: 1-line block ×3, first 2 shown]
	v_add_f64 v[0:1], v[32:33], v[0:1]
	v_mul_f64 v[32:33], v[20:21], s[8:9]
	v_mul_f64 v[36:37], v[38:39], s[22:23]
	;; [unrolled: 1-line block ×4, first 2 shown]
	v_add_f64 v[10:11], v[201:202], v[24:25]
	v_add_f64 v[8:9], v[199:200], v[22:23]
	v_fma_f64 v[18:19], v[18:19], s[8:9], v[12:13]
	v_fma_f64 v[20:21], v[20:21], s[8:9], v[14:15]
	v_fma_f64 v[26:27], v[28:29], s[14:15], -v[26:27]
	v_fma_f64 v[12:13], v[28:29], s[16:17], -v[12:13]
	;; [unrolled: 1-line block ×4, first 2 shown]
	v_fma_f64 v[28:29], v[4:5], s[18:19], v[36:37]
	v_fma_f64 v[30:31], v[6:7], s[18:19], v[38:39]
	v_fma_f64 v[2:3], v[2:3], s[4:5], -v[36:37]
	v_fma_f64 v[36:37], v[46:47], s[4:5], -v[38:39]
	v_fma_f64 v[4:5], v[4:5], s[10:11], v[44:45]
	v_fma_f64 v[6:7], v[6:7], s[10:11], v[48:49]
	;; [unrolled: 1-line block ×9, first 2 shown]
	v_add_f64 v[6:7], v[236:237], -v[244:245]
	v_add_f64 v[44:45], v[20:21], v[24:25]
	v_add_f64 v[38:39], v[18:19], v[22:23]
	v_add_f64 v[26:27], v[26:27], v[22:23]
	v_add_f64 v[32:33], v[32:33], v[24:25]
	v_add_f64 v[48:49], v[14:15], v[24:25]
	v_fma_f64 v[24:25], v[16:17], s[2:3], v[36:37]
	v_add_f64 v[46:47], v[12:13], v[22:23]
	v_add_f64 v[18:19], v[44:45], -v[50:51]
	v_add_f64 v[16:17], v[52:53], v[38:39]
	v_add_f64 v[36:37], v[38:39], -v[52:53]
	;; [unrolled: 2-line block ×3, first 2 shown]
	v_add_f64 v[20:21], v[26:27], -v[24:25]
	v_add_f64 v[24:25], v[24:25], v[26:27]
	v_add_f64 v[26:27], v[32:33], -v[2:3]
	v_add_f64 v[30:31], v[0:1], v[48:49]
	v_add_f64 v[38:39], v[50:51], v[44:45]
	;; [unrolled: 1-line block ×7, first 2 shown]
	v_add_f64 v[28:29], v[46:47], -v[4:5]
	v_add_f64 v[4:5], v[234:235], -v[242:243]
	;; [unrolled: 1-line block ×4, first 2 shown]
	v_add_f64 v[50:51], v[222:223], v[230:231]
	v_add_f64 v[52:53], v[224:225], v[232:233]
	;; [unrolled: 1-line block ×4, first 2 shown]
	v_add_f64 v[62:63], v[32:33], -v[0:1]
	v_add_f64 v[64:65], v[44:45], -v[2:3]
	v_add_f64 v[66:67], v[54:55], v[46:47]
	v_add_f64 v[70:71], v[56:57], v[48:49]
	v_add_f64 v[0:1], v[0:1], -v[50:51]
	v_add_f64 v[2:3], v[2:3], -v[52:53]
	;; [unrolled: 1-line block ×10, first 2 shown]
	v_add_f64 v[50:51], v[50:51], v[58:59]
	v_add_f64 v[52:53], v[52:53], v[60:61]
	v_add_f64 v[4:5], v[66:67], v[4:5]
	v_add_f64 v[6:7], v[70:71], v[6:7]
	v_mul_f64 v[0:1], v[0:1], s[26:27]
	v_mul_f64 v[2:3], v[2:3], s[26:27]
	;; [unrolled: 1-line block ×8, first 2 shown]
	v_add_f64 v[40:41], v[40:41], v[50:51]
	v_add_f64 v[42:43], v[42:43], v[52:53]
	v_fma_f64 v[32:33], v[32:33], s[8:9], v[0:1]
	v_fma_f64 v[44:45], v[44:45], s[8:9], v[2:3]
	v_fma_f64 v[58:59], v[62:63], s[14:15], -v[58:59]
	v_fma_f64 v[60:61], v[64:65], s[14:15], -v[60:61]
	;; [unrolled: 1-line block ×4, first 2 shown]
	v_fma_f64 v[62:63], v[54:55], s[18:19], v[66:67]
	v_fma_f64 v[64:65], v[56:57], s[18:19], v[70:71]
	v_fma_f64 v[46:47], v[46:47], s[4:5], -v[66:67]
	v_fma_f64 v[48:49], v[48:49], s[4:5], -v[70:71]
	v_fma_f64 v[54:55], v[54:55], s[10:11], v[76:77]
	v_fma_f64 v[56:57], v[56:57], s[10:11], v[78:79]
	v_add_f64 v[78:79], v[34:35], v[206:207]
	v_add_f64 v[34:35], v[206:207], -v[34:35]
	v_fma_f64 v[50:51], v[50:51], s[20:21], v[40:41]
	v_fma_f64 v[52:53], v[52:53], s[20:21], v[42:43]
	;; [unrolled: 1-line block ×8, first 2 shown]
	v_add_f64 v[32:33], v[32:33], v[50:51]
	v_add_f64 v[66:67], v[44:45], v[52:53]
	;; [unrolled: 1-line block ×7, first 2 shown]
	v_add_f64 v[50:51], v[66:67], -v[70:71]
	v_add_f64 v[52:53], v[58:59], -v[76:77]
	v_add_f64 v[54:55], v[62:63], v[60:61]
	v_add_f64 v[44:45], v[6:7], v[0:1]
	v_add_f64 v[46:47], v[2:3], -v[4:5]
	v_add_f64 v[56:57], v[76:77], v[58:59]
	v_add_f64 v[58:59], v[60:61], -v[62:63]
	v_add_f64 v[60:61], v[0:1], -v[6:7]
	v_add_f64 v[62:63], v[4:5], v[2:3]
	v_add_f64 v[64:65], v[32:33], -v[64:65]
	v_add_f64 v[66:67], v[70:71], v[66:67]
	v_add_f64 v[0:1], v[210:211], v[218:219]
	;; [unrolled: 1-line block ×5, first 2 shown]
	v_add_f64 v[4:5], v[210:211], -v[218:219]
	v_add_f64 v[6:7], v[212:213], -v[220:221]
	;; [unrolled: 1-line block ×4, first 2 shown]
	v_add_f64 v[84:85], v[32:33], v[0:1]
	v_add_f64 v[86:87], v[70:71], v[2:3]
	v_add_f64 v[88:89], v[32:33], -v[0:1]
	v_add_f64 v[90:91], v[70:71], -v[2:3]
	;; [unrolled: 1-line block ×6, first 2 shown]
	v_add_f64 v[92:93], v[34:35], v[68:69]
	v_add_f64 v[94:95], v[82:83], v[76:77]
	v_add_f64 v[96:97], v[34:35], -v[68:69]
	v_add_f64 v[98:99], v[82:83], -v[76:77]
	;; [unrolled: 1-line block ×6, first 2 shown]
	v_add_f64 v[78:79], v[78:79], v[84:85]
	v_add_f64 v[80:81], v[80:81], v[86:87]
	v_mul_f64 v[0:1], v[0:1], s[26:27]
	v_mul_f64 v[2:3], v[2:3], s[26:27]
	;; [unrolled: 1-line block ×4, first 2 shown]
	v_add_f64 v[4:5], v[92:93], v[4:5]
	v_add_f64 v[6:7], v[94:95], v[6:7]
	v_mul_f64 v[92:93], v[96:97], s[22:23]
	v_mul_f64 v[94:95], v[98:99], s[22:23]
	;; [unrolled: 1-line block ×4, first 2 shown]
	v_add_f64 v[72:73], v[72:73], v[78:79]
	v_add_f64 v[74:75], v[74:75], v[80:81]
	v_fma_f64 v[32:33], v[32:33], s[8:9], v[0:1]
	v_fma_f64 v[70:71], v[70:71], s[8:9], v[2:3]
	v_fma_f64 v[84:85], v[88:89], s[14:15], -v[84:85]
	v_fma_f64 v[86:87], v[90:91], s[14:15], -v[86:87]
	;; [unrolled: 1-line block ×4, first 2 shown]
	v_fma_f64 v[88:89], v[34:35], s[18:19], v[92:93]
	v_fma_f64 v[90:91], v[82:83], s[18:19], v[94:95]
	v_fma_f64 v[68:69], v[68:69], s[4:5], -v[92:93]
	v_fma_f64 v[76:77], v[76:77], s[4:5], -v[94:95]
	v_fma_f64 v[34:35], v[34:35], s[10:11], v[96:97]
	v_fma_f64 v[82:83], v[82:83], s[10:11], v[98:99]
	;; [unrolled: 1-line block ×10, first 2 shown]
	v_add_f64 v[34:35], v[118:119], v[104:105]
	v_add_f64 v[92:93], v[84:85], v[78:79]
	;; [unrolled: 1-line block ×7, first 2 shown]
	v_add_f64 v[84:85], v[92:93], -v[88:89]
	v_add_f64 v[82:83], v[70:71], -v[98:99]
	v_add_f64 v[86:87], v[68:69], v[94:95]
	v_add_f64 v[76:77], v[6:7], v[0:1]
	v_add_f64 v[78:79], v[2:3], -v[4:5]
	v_add_f64 v[88:89], v[88:89], v[92:93]
	v_add_f64 v[90:91], v[94:95], -v[68:69]
	v_add_f64 v[92:93], v[0:1], -v[6:7]
	v_add_f64 v[94:95], v[4:5], v[2:3]
	v_add_f64 v[98:99], v[98:99], v[70:71]
	;; [unrolled: 1-line block ×3, first 2 shown]
	v_add_f64 v[4:5], v[246:247], -v[106:107]
	v_add_f64 v[6:7], v[122:123], -v[100:101]
	;; [unrolled: 1-line block ×6, first 2 shown]
	v_add_f64 v[80:81], v[96:97], v[32:33]
	v_add_f64 v[96:97], v[32:33], -v[96:97]
	v_add_f64 v[2:3], v[122:123], v[100:101]
	v_add_f64 v[32:33], v[120:121], v[110:111]
	;; [unrolled: 1-line block ×3, first 2 shown]
	v_add_f64 v[197:198], v[68:69], -v[4:5]
	v_add_f64 v[199:200], v[70:71], -v[6:7]
	v_add_f64 v[116:117], v[104:105], v[68:69]
	v_add_f64 v[118:119], v[106:107], v[70:71]
	v_add_f64 v[120:121], v[104:105], -v[68:69]
	v_add_f64 v[122:123], v[106:107], -v[70:71]
	scratch_load_b128 v[68:71], off, off offset:940 ; 16-byte Folded Reload
	v_add_f64 v[108:109], v[32:33], v[0:1]
	v_add_f64 v[110:111], v[34:35], v[2:3]
	v_add_f64 v[112:113], v[32:33], -v[0:1]
	v_add_f64 v[114:115], v[34:35], -v[2:3]
	v_add_f64 v[0:1], v[0:1], -v[100:101]
	v_add_f64 v[2:3], v[2:3], -v[102:103]
	v_add_f64 v[32:33], v[100:101], -v[32:33]
	v_add_f64 v[34:35], v[102:103], -v[34:35]
	v_add_f64 v[104:105], v[4:5], -v[104:105]
	v_add_f64 v[106:107], v[6:7], -v[106:107]
	v_add_f64 v[4:5], v[116:117], v[4:5]
	v_add_f64 v[6:7], v[118:119], v[6:7]
	v_mul_f64 v[116:117], v[120:121], s[22:23]
	v_mul_f64 v[118:119], v[122:123], s[22:23]
	;; [unrolled: 1-line block ×3, first 2 shown]
	v_add_f64 v[100:101], v[100:101], v[108:109]
	v_add_f64 v[102:103], v[102:103], v[110:111]
	v_mul_f64 v[122:123], v[199:200], s[24:25]
	v_mul_f64 v[0:1], v[0:1], s[26:27]
	;; [unrolled: 1-line block ×5, first 2 shown]
	s_delay_alu instid0(VALU_DEP_4) | instskip(NEXT) | instid1(VALU_DEP_4)
	v_fma_f64 v[32:33], v[32:33], s[8:9], v[0:1]
	v_fma_f64 v[34:35], v[34:35], s[8:9], v[2:3]
	s_delay_alu instid0(VALU_DEP_4) | instskip(NEXT) | instid1(VALU_DEP_4)
	v_fma_f64 v[108:109], v[112:113], s[14:15], -v[108:109]
	v_fma_f64 v[110:111], v[114:115], s[14:15], -v[110:111]
	;; [unrolled: 1-line block ×4, first 2 shown]
	v_fma_f64 v[112:113], v[104:105], s[18:19], v[116:117]
	v_fma_f64 v[114:115], v[106:107], s[18:19], v[118:119]
	v_fma_f64 v[116:117], v[197:198], s[4:5], -v[116:117]
	v_fma_f64 v[118:119], v[199:200], s[4:5], -v[118:119]
	v_fma_f64 v[104:105], v[104:105], s[10:11], v[120:121]
	v_fma_f64 v[106:107], v[106:107], s[10:11], v[122:123]
	;; [unrolled: 1-line block ×8, first 2 shown]
	s_waitcnt vmcnt(0)
	v_add_f64 v[68:69], v[68:69], v[100:101]
	v_add_f64 v[70:71], v[70:71], v[102:103]
	s_delay_alu instid0(VALU_DEP_2) | instskip(NEXT) | instid1(VALU_DEP_2)
	v_fma_f64 v[100:101], v[100:101], s[20:21], v[68:69]
	v_fma_f64 v[102:103], v[102:103], s[20:21], v[70:71]
	s_delay_alu instid0(VALU_DEP_2) | instskip(NEXT) | instid1(VALU_DEP_2)
	v_add_f64 v[32:33], v[32:33], v[100:101]
	v_add_f64 v[34:35], v[34:35], v[102:103]
	;; [unrolled: 1-line block ×7, first 2 shown]
	v_add_f64 v[106:107], v[34:35], -v[197:198]
	v_add_f64 v[108:109], v[120:121], -v[112:113]
	v_add_f64 v[110:111], v[114:115], v[122:123]
	v_add_f64 v[100:101], v[6:7], v[0:1]
	v_add_f64 v[102:103], v[2:3], -v[4:5]
	v_add_f64 v[112:113], v[112:113], v[120:121]
	v_add_f64 v[114:115], v[122:123], -v[114:115]
	v_add_f64 v[116:117], v[0:1], -v[6:7]
	v_add_f64 v[118:119], v[4:5], v[2:3]
	v_add_f64 v[120:121], v[32:33], -v[199:200]
	v_add_f64 v[122:123], v[197:198], v[34:35]
	v_add_f64 v[0:1], v[136:137], v[144:145]
	;; [unrolled: 1-line block ×3, first 2 shown]
	v_add_f64 v[4:5], v[136:137], -v[144:145]
	v_add_f64 v[6:7], v[138:139], -v[146:147]
	v_add_f64 v[32:33], v[128:129], v[140:141]
	v_add_f64 v[34:35], v[130:131], v[142:143]
	v_add_f64 v[128:129], v[128:129], -v[140:141]
	v_add_f64 v[130:131], v[130:131], -v[142:143]
	v_add_f64 v[136:137], v[124:125], v[132:133]
	v_add_f64 v[138:139], v[126:127], v[134:135]
	;; [unrolled: 4-line block ×3, first 2 shown]
	v_add_f64 v[140:141], v[32:33], -v[0:1]
	v_add_f64 v[142:143], v[34:35], -v[2:3]
	;; [unrolled: 1-line block ×4, first 2 shown]
	v_add_f64 v[32:33], v[124:125], v[128:129]
	v_add_f64 v[34:35], v[126:127], v[130:131]
	v_add_f64 v[197:198], v[124:125], -v[128:129]
	v_add_f64 v[199:200], v[126:127], -v[130:131]
	v_add_f64 v[124:125], v[4:5], -v[124:125]
	v_add_f64 v[126:127], v[6:7], -v[126:127]
	v_add_f64 v[128:129], v[128:129], -v[4:5]
	v_add_f64 v[130:131], v[130:131], -v[6:7]
	v_add_f64 v[0:1], v[0:1], -v[136:137]
	v_add_f64 v[2:3], v[2:3], -v[138:139]
	v_add_f64 v[132:133], v[136:137], v[132:133]
	v_add_f64 v[134:135], v[138:139], v[134:135]
	v_mul_f64 v[136:137], v[144:145], s[8:9]
	v_mul_f64 v[138:139], v[146:147], s[8:9]
	v_add_f64 v[4:5], v[32:33], v[4:5]
	v_add_f64 v[6:7], v[34:35], v[6:7]
	scratch_load_b128 v[32:35], off, off offset:924 ; 16-byte Folded Reload
	v_mul_f64 v[197:198], v[197:198], s[22:23]
	v_mul_f64 v[199:200], v[199:200], s[22:23]
	;; [unrolled: 1-line block ×6, first 2 shown]
	v_fma_f64 v[136:137], v[140:141], s[14:15], -v[136:137]
	v_fma_f64 v[138:139], v[142:143], s[14:15], -v[138:139]
	;; [unrolled: 1-line block ×4, first 2 shown]
	v_fma_f64 v[144:145], v[144:145], s[8:9], v[0:1]
	v_fma_f64 v[146:147], v[146:147], s[8:9], v[2:3]
	v_fma_f64 v[0:1], v[140:141], s[16:17], -v[0:1]
	v_fma_f64 v[2:3], v[142:143], s[16:17], -v[2:3]
	v_fma_f64 v[140:141], v[124:125], s[18:19], v[197:198]
	v_fma_f64 v[142:143], v[126:127], s[18:19], v[199:200]
	;; [unrolled: 1-line block ×4, first 2 shown]
	s_delay_alu instid0(VALU_DEP_4) | instskip(NEXT) | instid1(VALU_DEP_4)
	v_fma_f64 v[197:198], v[4:5], s[2:3], v[140:141]
	v_fma_f64 v[199:200], v[6:7], s[2:3], v[142:143]
	;; [unrolled: 1-line block ×6, first 2 shown]
	s_waitcnt vmcnt(0)
	v_add_f64 v[32:33], v[32:33], v[132:133]
	v_add_f64 v[34:35], v[34:35], v[134:135]
	s_delay_alu instid0(VALU_DEP_2) | instskip(NEXT) | instid1(VALU_DEP_2)
	v_fma_f64 v[132:133], v[132:133], s[20:21], v[32:33]
	v_fma_f64 v[134:135], v[134:135], s[20:21], v[34:35]
	s_delay_alu instid0(VALU_DEP_2) | instskip(NEXT) | instid1(VALU_DEP_2)
	v_add_f64 v[136:137], v[136:137], v[132:133]
	v_add_f64 v[138:139], v[138:139], v[134:135]
	;; [unrolled: 1-line block ×6, first 2 shown]
	v_add_f64 v[132:133], v[136:137], -v[142:143]
	v_add_f64 v[134:135], v[140:141], v[138:139]
	v_add_f64 v[124:125], v[6:7], v[0:1]
	v_add_f64 v[126:127], v[2:3], -v[4:5]
	v_add_f64 v[136:137], v[142:143], v[136:137]
	v_add_f64 v[138:139], v[138:139], -v[140:141]
	v_add_f64 v[140:141], v[0:1], -v[6:7]
	v_add_f64 v[142:143], v[4:5], v[2:3]
	v_add_f64 v[0:1], v[160:161], v[168:169]
	;; [unrolled: 1-line block ×3, first 2 shown]
	v_add_f64 v[4:5], v[160:161], -v[168:169]
	v_add_f64 v[6:7], v[162:163], -v[170:171]
	v_add_f64 v[160:161], v[152:153], v[164:165]
	v_add_f64 v[162:163], v[154:155], v[166:167]
	v_add_f64 v[152:153], v[152:153], -v[164:165]
	v_add_f64 v[154:155], v[154:155], -v[166:167]
	v_add_f64 v[164:165], v[148:149], v[156:157]
	v_add_f64 v[166:167], v[150:151], v[158:159]
	v_add_f64 v[148:149], v[156:157], -v[148:149]
	v_add_f64 v[150:151], v[158:159], -v[150:151]
	v_add_f64 v[128:129], v[199:200], v[144:145]
	v_add_f64 v[130:131], v[146:147], -v[197:198]
	v_add_f64 v[144:145], v[144:145], -v[199:200]
	v_add_f64 v[146:147], v[197:198], v[146:147]
	v_add_f64 v[156:157], v[160:161], v[0:1]
	;; [unrolled: 1-line block ×3, first 2 shown]
	v_add_f64 v[168:169], v[160:161], -v[0:1]
	v_add_f64 v[170:171], v[162:163], -v[2:3]
	;; [unrolled: 1-line block ×4, first 2 shown]
	v_add_f64 v[197:198], v[148:149], v[152:153]
	v_add_f64 v[199:200], v[150:151], v[154:155]
	v_add_f64 v[160:161], v[164:165], -v[160:161]
	v_add_f64 v[162:163], v[166:167], -v[162:163]
	;; [unrolled: 1-line block ×8, first 2 shown]
	v_add_f64 v[156:157], v[164:165], v[156:157]
	v_add_f64 v[158:159], v[166:167], v[158:159]
	v_mul_f64 v[0:1], v[0:1], s[26:27]
	v_mul_f64 v[2:3], v[2:3], s[26:27]
	v_add_f64 v[164:165], v[197:198], v[4:5]
	v_add_f64 v[166:167], v[199:200], v[6:7]
	scratch_load_b128 v[4:7], off, off offset:908 ; 16-byte Folded Reload
	v_mul_f64 v[197:198], v[160:161], s[8:9]
	v_mul_f64 v[199:200], v[162:163], s[8:9]
	;; [unrolled: 1-line block ×6, first 2 shown]
	v_fma_f64 v[160:161], v[160:161], s[8:9], v[0:1]
	v_fma_f64 v[162:163], v[162:163], s[8:9], v[2:3]
	v_fma_f64 v[0:1], v[168:169], s[16:17], -v[0:1]
	v_fma_f64 v[2:3], v[170:171], s[16:17], -v[2:3]
	;; [unrolled: 1-line block ×4, first 2 shown]
	v_fma_f64 v[168:169], v[148:149], s[18:19], v[201:202]
	v_fma_f64 v[170:171], v[150:151], s[18:19], v[203:204]
	v_fma_f64 v[152:153], v[152:153], s[4:5], -v[201:202]
	v_fma_f64 v[148:149], v[148:149], s[10:11], v[205:206]
	v_fma_f64 v[150:151], v[150:151], s[10:11], v[207:208]
	v_fma_f64 v[154:155], v[154:155], s[4:5], -v[203:204]
	s_delay_alu instid0(VALU_DEP_3) | instskip(SKIP_3) | instid1(VALU_DEP_2)
	v_fma_f64 v[205:206], v[164:165], s[2:3], v[148:149]
	s_waitcnt vmcnt(0)
	v_add_f64 v[4:5], v[4:5], v[156:157]
	v_add_f64 v[6:7], v[6:7], v[158:159]
	v_fma_f64 v[156:157], v[156:157], s[20:21], v[4:5]
	s_delay_alu instid0(VALU_DEP_2) | instskip(NEXT) | instid1(VALU_DEP_2)
	v_fma_f64 v[158:159], v[158:159], s[20:21], v[6:7]
	v_add_f64 v[201:202], v[160:161], v[156:157]
	v_add_f64 v[160:161], v[197:198], v[156:157]
	v_add_f64 v[0:1], v[0:1], v[156:157]
	s_delay_alu instid0(VALU_DEP_4)
	v_add_f64 v[2:3], v[2:3], v[158:159]
	v_fma_f64 v[197:198], v[164:165], s[2:3], v[168:169]
	v_fma_f64 v[168:169], v[166:167], s[2:3], v[170:171]
	;; [unrolled: 1-line block ×4, first 2 shown]
	v_add_f64 v[203:204], v[162:163], v[158:159]
	v_add_f64 v[162:163], v[199:200], v[158:159]
	v_fma_f64 v[199:200], v[166:167], s[2:3], v[154:155]
	v_add_f64 v[150:151], v[2:3], -v[205:206]
	v_add_f64 v[166:167], v[205:206], v[2:3]
	v_add_f64 v[2:3], v[186:187], v[194:195]
	v_add_f64 v[186:187], v[186:187], -v[194:195]
	v_add_f64 v[148:149], v[164:165], v[0:1]
	v_add_f64 v[164:165], v[0:1], -v[164:165]
	v_add_f64 v[0:1], v[184:185], v[192:193]
	v_add_f64 v[184:185], v[184:185], -v[192:193]
	v_add_f64 v[192:193], v[180:181], v[188:189]
	v_add_f64 v[194:195], v[182:183], v[190:191]
	v_add_f64 v[180:181], v[180:181], -v[188:189]
	v_add_f64 v[182:183], v[182:183], -v[190:191]
	v_add_f64 v[188:189], v[172:173], v[176:177]
	v_add_f64 v[190:191], v[174:175], v[178:179]
	v_add_f64 v[172:173], v[176:177], -v[172:173]
	v_add_f64 v[174:175], v[178:179], -v[174:175]
	v_add_f64 v[152:153], v[168:169], v[201:202]
	v_add_f64 v[154:155], v[203:204], -v[197:198]
	v_add_f64 v[156:157], v[160:161], -v[199:200]
	v_add_f64 v[158:159], v[170:171], v[162:163]
	v_add_f64 v[160:161], v[199:200], v[160:161]
	v_add_f64 v[162:163], v[162:163], -v[170:171]
	v_add_f64 v[168:169], v[201:202], -v[168:169]
	v_add_f64 v[170:171], v[197:198], v[203:204]
	v_add_f64 v[176:177], v[192:193], v[0:1]
	;; [unrolled: 1-line block ×3, first 2 shown]
	v_add_f64 v[197:198], v[192:193], -v[0:1]
	v_add_f64 v[199:200], v[194:195], -v[2:3]
	;; [unrolled: 1-line block ×4, first 2 shown]
	v_add_f64 v[0:1], v[172:173], v[180:181]
	v_add_f64 v[2:3], v[174:175], v[182:183]
	v_add_f64 v[205:206], v[172:173], -v[180:181]
	v_add_f64 v[207:208], v[174:175], -v[182:183]
	;; [unrolled: 1-line block ×8, first 2 shown]
	v_add_f64 v[176:177], v[188:189], v[176:177]
	v_add_f64 v[178:179], v[190:191], v[178:179]
	v_mul_f64 v[188:189], v[201:202], s[26:27]
	v_mul_f64 v[190:191], v[203:204], s[26:27]
	v_add_f64 v[184:185], v[0:1], v[184:185]
	v_add_f64 v[186:187], v[2:3], v[186:187]
	scratch_load_b128 v[0:3], off, off offset:796 ; 16-byte Folded Reload
	v_mul_f64 v[205:206], v[205:206], s[22:23]
	v_mul_f64 v[207:208], v[207:208], s[22:23]
	;; [unrolled: 1-line block ×6, first 2 shown]
	v_fma_f64 v[192:193], v[192:193], s[8:9], v[188:189]
	v_fma_f64 v[194:195], v[194:195], s[8:9], v[190:191]
	v_fma_f64 v[188:189], v[197:198], s[16:17], -v[188:189]
	v_fma_f64 v[190:191], v[199:200], s[16:17], -v[190:191]
	;; [unrolled: 1-line block ×4, first 2 shown]
	s_mul_i32 s4, s1, 0x1570
	s_mul_hi_u32 s5, s0, 0x1570
	v_fma_f64 v[201:202], v[197:198], s[14:15], -v[201:202]
	v_fma_f64 v[203:204], v[199:200], s[14:15], -v[203:204]
	v_fma_f64 v[197:198], v[172:173], s[18:19], v[205:206]
	v_fma_f64 v[199:200], v[174:175], s[18:19], v[207:208]
	;; [unrolled: 1-line block ×4, first 2 shown]
	s_add_i32 s4, s5, s4
	s_mul_i32 s5, s0, 0x1570
	v_fma_f64 v[205:206], v[184:185], s[2:3], v[180:181]
	v_fma_f64 v[207:208], v[186:187], s[2:3], v[182:183]
	;; [unrolled: 1-line block ×6, first 2 shown]
	s_mov_b32 s2, 0x5cf97efd
	s_mov_b32 s3, 0x3f3b4b98
	s_waitcnt vmcnt(0)
	v_add_f64 v[0:1], v[0:1], v[176:177]
	v_add_f64 v[2:3], v[2:3], v[178:179]
	s_delay_alu instid0(VALU_DEP_2) | instskip(NEXT) | instid1(VALU_DEP_2)
	v_fma_f64 v[176:177], v[176:177], s[20:21], v[0:1]
	v_fma_f64 v[178:179], v[178:179], s[20:21], v[2:3]
	s_delay_alu instid0(VALU_DEP_2) | instskip(NEXT) | instid1(VALU_DEP_2)
	v_add_f64 v[192:193], v[192:193], v[176:177]
	v_add_f64 v[194:195], v[194:195], v[178:179]
	v_add_f64 v[201:202], v[201:202], v[176:177]
	v_add_f64 v[203:204], v[203:204], v[178:179]
	v_add_f64 v[188:189], v[188:189], v[176:177]
	v_add_f64 v[190:191], v[190:191], v[178:179]
	v_add_f64 v[172:173], v[199:200], v[192:193]
	v_add_f64 v[174:175], v[194:195], -v[197:198]
	v_add_f64 v[180:181], v[201:202], -v[207:208]
	v_add_f64 v[182:183], v[205:206], v[203:204]
	v_add_f64 v[176:177], v[211:212], v[188:189]
	v_add_f64 v[178:179], v[190:191], -v[209:210]
	v_add_f64 v[184:185], v[207:208], v[201:202]
	v_add_f64 v[186:187], v[203:204], -v[205:206]
	v_add_f64 v[188:189], v[188:189], -v[211:212]
	v_add_f64 v[190:191], v[209:210], v[190:191]
	v_add_f64 v[192:193], v[192:193], -v[199:200]
	v_add_f64 v[194:195], v[197:198], v[194:195]
	ds_store_b128 v196, v[8:11]
	ds_store_b128 v196, v[16:19] offset:5488
	ds_store_b128 v196, v[12:15] offset:10976
	ds_store_b128 v196, v[20:23] offset:16464
	ds_store_b128 v196, v[24:27] offset:21952
	ds_store_b128 v196, v[28:31] offset:27440
	ds_store_b128 v196, v[36:39] offset:32928
	ds_store_b128 v196, v[40:43] offset:784
	ds_store_b128 v196, v[48:51] offset:6272
	ds_store_b128 v196, v[44:47] offset:11760
	ds_store_b128 v196, v[52:55] offset:17248
	ds_store_b128 v196, v[56:59] offset:22736
	ds_store_b128 v196, v[60:63] offset:28224
	ds_store_b128 v196, v[64:67] offset:33712
	ds_store_b128 v196, v[72:75] offset:1568
	ds_store_b128 v196, v[80:83] offset:7056
	ds_store_b128 v196, v[76:79] offset:12544
	ds_store_b128 v196, v[84:87] offset:18032
	ds_store_b128 v196, v[88:91] offset:23520
	ds_store_b128 v196, v[92:95] offset:29008
	ds_store_b128 v196, v[96:99] offset:34496
	ds_store_b128 v196, v[68:71] offset:2352
	ds_store_b128 v196, v[104:107] offset:7840
	ds_store_b128 v196, v[100:103] offset:13328
	ds_store_b128 v196, v[108:111] offset:18816
	ds_store_b128 v196, v[112:115] offset:24304
	ds_store_b128 v196, v[116:119] offset:29792
	ds_store_b128 v196, v[120:123] offset:35280
	ds_store_b128 v196, v[32:35] offset:3136
	ds_store_b128 v196, v[128:131] offset:8624
	ds_store_b128 v196, v[124:127] offset:14112
	ds_store_b128 v196, v[132:135] offset:19600
	ds_store_b128 v196, v[136:139] offset:25088
	ds_store_b128 v196, v[140:143] offset:30576
	ds_store_b128 v196, v[144:147] offset:36064
	ds_store_b128 v196, v[4:7] offset:3920
	ds_store_b128 v196, v[152:155] offset:9408
	ds_store_b128 v196, v[148:151] offset:14896
	ds_store_b128 v196, v[156:159] offset:20384
	ds_store_b128 v196, v[160:163] offset:25872
	ds_store_b128 v196, v[164:167] offset:31360
	ds_store_b128 v196, v[168:171] offset:36848
	ds_store_b128 v196, v[0:3] offset:4704
	ds_store_b128 v196, v[172:175] offset:10192
	ds_store_b128 v196, v[176:179] offset:15680
	ds_store_b128 v196, v[180:183] offset:21168
	ds_store_b128 v196, v[184:187] offset:26656
	ds_store_b128 v196, v[188:191] offset:32144
	ds_store_b128 v196, v[192:195] offset:37632
	s_waitcnt lgkmcnt(0)
	s_waitcnt_vscnt null, 0x0
	s_barrier
	buffer_gl0_inv
	s_clause 0x1
	scratch_load_b128 v[6:9], off, off offset:124
	scratch_load_b128 v[10:13], off, off offset:76
	ds_load_b128 v[0:3], v196
	s_waitcnt vmcnt(1) lgkmcnt(0)
	v_mul_f64 v[4:5], v[8:9], v[2:3]
	s_delay_alu instid0(VALU_DEP_1) | instskip(SKIP_4) | instid1(VALU_DEP_1)
	v_fma_f64 v[4:5], v[6:7], v[0:1], v[4:5]
	v_mul_f64 v[0:1], v[8:9], v[0:1]
	scratch_load_b32 v8, off, off           ; 4-byte Folded Reload
	v_mul_f64 v[4:5], v[4:5], s[2:3]
	v_fma_f64 v[0:1], v[6:7], v[2:3], -v[0:1]
	v_mul_f64 v[6:7], v[0:1], s[2:3]
	s_waitcnt vmcnt(0)
	v_mad_u64_u32 v[0:1], null, s0, v8, 0
	s_mulk_i32 s0, 0x8270
	s_delay_alu instid0(VALU_DEP_1) | instskip(SKIP_1) | instid1(SALU_CYCLE_1)
	v_mad_u64_u32 v[2:3], null, s1, v8, v[1:2]
	s_mulk_i32 s1, 0x8270
	s_add_i32 s1, s6, s1
	s_delay_alu instid0(VALU_DEP_1) | instskip(SKIP_4) | instid1(VALU_DEP_1)
	v_mov_b32_e32 v1, v2
	scratch_load_b64 v[2:3], off, off offset:20 ; 8-byte Folded Reload
	v_lshlrev_b64 v[0:1], 4, v[0:1]
	s_waitcnt vmcnt(0)
	v_lshlrev_b64 v[2:3], 4, v[2:3]
	v_add_co_u32 v2, vcc_lo, s12, v2
	s_delay_alu instid0(VALU_DEP_2) | instskip(NEXT) | instid1(VALU_DEP_2)
	v_add_co_ci_u32_e32 v3, vcc_lo, s13, v3, vcc_lo
	v_add_co_u32 v8, vcc_lo, v2, v0
	s_delay_alu instid0(VALU_DEP_2)
	v_add_co_ci_u32_e32 v9, vcc_lo, v3, v1, vcc_lo
	ds_load_b128 v[0:3], v196 offset:5488
	global_store_b128 v[8:9], v[4:7], off
	v_add_co_u32 v8, vcc_lo, v8, s5
	v_add_co_ci_u32_e32 v9, vcc_lo, s4, v9, vcc_lo
	s_waitcnt lgkmcnt(0)
	v_mul_f64 v[4:5], v[12:13], v[2:3]
	s_delay_alu instid0(VALU_DEP_1) | instskip(SKIP_1) | instid1(VALU_DEP_2)
	v_fma_f64 v[4:5], v[10:11], v[0:1], v[4:5]
	v_mul_f64 v[0:1], v[12:13], v[0:1]
	v_mul_f64 v[4:5], v[4:5], s[2:3]
	s_delay_alu instid0(VALU_DEP_2)
	v_fma_f64 v[0:1], v[10:11], v[2:3], -v[0:1]
	scratch_load_b128 v[10:13], off, off offset:28 ; 16-byte Folded Reload
	v_mul_f64 v[6:7], v[0:1], s[2:3]
	ds_load_b128 v[0:3], v196 offset:10976
	global_store_b128 v[8:9], v[4:7], off
	v_add_co_u32 v8, vcc_lo, v8, s5
	v_add_co_ci_u32_e32 v9, vcc_lo, s4, v9, vcc_lo
	s_waitcnt vmcnt(0) lgkmcnt(0)
	v_mul_f64 v[4:5], v[12:13], v[2:3]
	s_delay_alu instid0(VALU_DEP_1) | instskip(SKIP_1) | instid1(VALU_DEP_2)
	v_fma_f64 v[4:5], v[10:11], v[0:1], v[4:5]
	v_mul_f64 v[0:1], v[12:13], v[0:1]
	v_mul_f64 v[4:5], v[4:5], s[2:3]
	s_delay_alu instid0(VALU_DEP_2)
	v_fma_f64 v[0:1], v[10:11], v[2:3], -v[0:1]
	scratch_load_b128 v[10:13], off, off offset:44 ; 16-byte Folded Reload
	v_mul_f64 v[6:7], v[0:1], s[2:3]
	ds_load_b128 v[0:3], v196 offset:16464
	global_store_b128 v[8:9], v[4:7], off
	v_add_co_u32 v8, vcc_lo, v8, s5
	v_add_co_ci_u32_e32 v9, vcc_lo, s4, v9, vcc_lo
	s_waitcnt vmcnt(0) lgkmcnt(0)
	v_mul_f64 v[4:5], v[12:13], v[2:3]
	s_delay_alu instid0(VALU_DEP_1) | instskip(SKIP_1) | instid1(VALU_DEP_2)
	v_fma_f64 v[4:5], v[10:11], v[0:1], v[4:5]
	v_mul_f64 v[0:1], v[12:13], v[0:1]
	v_mul_f64 v[4:5], v[4:5], s[2:3]
	s_delay_alu instid0(VALU_DEP_2)
	v_fma_f64 v[0:1], v[10:11], v[2:3], -v[0:1]
	scratch_load_b128 v[10:13], off, off offset:60 ; 16-byte Folded Reload
	v_mul_f64 v[6:7], v[0:1], s[2:3]
	ds_load_b128 v[0:3], v196 offset:21952
	global_store_b128 v[8:9], v[4:7], off
	v_add_co_u32 v8, vcc_lo, v8, s5
	v_add_co_ci_u32_e32 v9, vcc_lo, s4, v9, vcc_lo
	s_waitcnt vmcnt(0) lgkmcnt(0)
	v_mul_f64 v[4:5], v[12:13], v[2:3]
	s_delay_alu instid0(VALU_DEP_1) | instskip(SKIP_1) | instid1(VALU_DEP_2)
	v_fma_f64 v[4:5], v[10:11], v[0:1], v[4:5]
	v_mul_f64 v[0:1], v[12:13], v[0:1]
	v_mul_f64 v[4:5], v[4:5], s[2:3]
	s_delay_alu instid0(VALU_DEP_2)
	v_fma_f64 v[0:1], v[10:11], v[2:3], -v[0:1]
	scratch_load_b128 v[10:13], off, off offset:92 ; 16-byte Folded Reload
	v_mul_f64 v[6:7], v[0:1], s[2:3]
	ds_load_b128 v[0:3], v196 offset:27440
	global_store_b128 v[8:9], v[4:7], off
	v_add_co_u32 v8, vcc_lo, v8, s5
	v_add_co_ci_u32_e32 v9, vcc_lo, s4, v9, vcc_lo
	s_waitcnt vmcnt(0) lgkmcnt(0)
	v_mul_f64 v[4:5], v[12:13], v[2:3]
	s_delay_alu instid0(VALU_DEP_1) | instskip(SKIP_1) | instid1(VALU_DEP_2)
	v_fma_f64 v[4:5], v[10:11], v[0:1], v[4:5]
	v_mul_f64 v[0:1], v[12:13], v[0:1]
	v_mul_f64 v[4:5], v[4:5], s[2:3]
	s_delay_alu instid0(VALU_DEP_2)
	v_fma_f64 v[0:1], v[10:11], v[2:3], -v[0:1]
	scratch_load_b128 v[10:13], off, off offset:108 ; 16-byte Folded Reload
	v_mul_f64 v[6:7], v[0:1], s[2:3]
	ds_load_b128 v[0:3], v196 offset:32928
	global_store_b128 v[8:9], v[4:7], off
	v_add_co_u32 v8, vcc_lo, v8, s5
	v_add_co_ci_u32_e32 v9, vcc_lo, s4, v9, vcc_lo
	s_waitcnt vmcnt(0) lgkmcnt(0)
	v_mul_f64 v[4:5], v[12:13], v[2:3]
	s_delay_alu instid0(VALU_DEP_1) | instskip(SKIP_1) | instid1(VALU_DEP_2)
	v_fma_f64 v[4:5], v[10:11], v[0:1], v[4:5]
	v_mul_f64 v[0:1], v[12:13], v[0:1]
	v_mul_f64 v[4:5], v[4:5], s[2:3]
	s_delay_alu instid0(VALU_DEP_2)
	v_fma_f64 v[0:1], v[10:11], v[2:3], -v[0:1]
	scratch_load_b128 v[10:13], off, off offset:140 ; 16-byte Folded Reload
	v_mul_f64 v[6:7], v[0:1], s[2:3]
	ds_load_b128 v[0:3], v196 offset:784
	global_store_b128 v[8:9], v[4:7], off
	v_add_co_u32 v8, vcc_lo, v8, s0
	v_add_co_ci_u32_e32 v9, vcc_lo, s1, v9, vcc_lo
	s_waitcnt vmcnt(0) lgkmcnt(0)
	v_mul_f64 v[4:5], v[12:13], v[2:3]
	s_delay_alu instid0(VALU_DEP_1) | instskip(SKIP_1) | instid1(VALU_DEP_2)
	v_fma_f64 v[4:5], v[10:11], v[0:1], v[4:5]
	v_mul_f64 v[0:1], v[12:13], v[0:1]
	v_mul_f64 v[4:5], v[4:5], s[2:3]
	s_delay_alu instid0(VALU_DEP_2)
	v_fma_f64 v[0:1], v[10:11], v[2:3], -v[0:1]
	scratch_load_b128 v[10:13], off, off offset:156 ; 16-byte Folded Reload
	v_mul_f64 v[6:7], v[0:1], s[2:3]
	ds_load_b128 v[0:3], v196 offset:6272
	global_store_b128 v[8:9], v[4:7], off
	v_add_co_u32 v8, vcc_lo, v8, s5
	v_add_co_ci_u32_e32 v9, vcc_lo, s4, v9, vcc_lo
	s_waitcnt vmcnt(0) lgkmcnt(0)
	v_mul_f64 v[4:5], v[12:13], v[2:3]
	s_delay_alu instid0(VALU_DEP_1) | instskip(SKIP_1) | instid1(VALU_DEP_2)
	v_fma_f64 v[4:5], v[10:11], v[0:1], v[4:5]
	v_mul_f64 v[0:1], v[12:13], v[0:1]
	v_mul_f64 v[4:5], v[4:5], s[2:3]
	s_delay_alu instid0(VALU_DEP_2)
	v_fma_f64 v[0:1], v[10:11], v[2:3], -v[0:1]
	scratch_load_b128 v[10:13], off, off offset:172 ; 16-byte Folded Reload
	v_mul_f64 v[6:7], v[0:1], s[2:3]
	ds_load_b128 v[0:3], v196 offset:11760
	global_store_b128 v[8:9], v[4:7], off
	v_add_co_u32 v8, vcc_lo, v8, s5
	v_add_co_ci_u32_e32 v9, vcc_lo, s4, v9, vcc_lo
	s_waitcnt vmcnt(0) lgkmcnt(0)
	v_mul_f64 v[4:5], v[12:13], v[2:3]
	s_delay_alu instid0(VALU_DEP_1) | instskip(SKIP_1) | instid1(VALU_DEP_2)
	v_fma_f64 v[4:5], v[10:11], v[0:1], v[4:5]
	v_mul_f64 v[0:1], v[12:13], v[0:1]
	v_mul_f64 v[4:5], v[4:5], s[2:3]
	s_delay_alu instid0(VALU_DEP_2)
	v_fma_f64 v[0:1], v[10:11], v[2:3], -v[0:1]
	scratch_load_b128 v[10:13], off, off offset:188 ; 16-byte Folded Reload
	v_mul_f64 v[6:7], v[0:1], s[2:3]
	ds_load_b128 v[0:3], v196 offset:17248
	global_store_b128 v[8:9], v[4:7], off
	v_add_co_u32 v8, vcc_lo, v8, s5
	v_add_co_ci_u32_e32 v9, vcc_lo, s4, v9, vcc_lo
	s_waitcnt vmcnt(0) lgkmcnt(0)
	v_mul_f64 v[4:5], v[12:13], v[2:3]
	s_delay_alu instid0(VALU_DEP_1) | instskip(SKIP_1) | instid1(VALU_DEP_2)
	v_fma_f64 v[4:5], v[10:11], v[0:1], v[4:5]
	v_mul_f64 v[0:1], v[12:13], v[0:1]
	v_mul_f64 v[4:5], v[4:5], s[2:3]
	s_delay_alu instid0(VALU_DEP_2)
	v_fma_f64 v[0:1], v[10:11], v[2:3], -v[0:1]
	scratch_load_b128 v[10:13], off, off offset:204 ; 16-byte Folded Reload
	v_mul_f64 v[6:7], v[0:1], s[2:3]
	ds_load_b128 v[0:3], v196 offset:22736
	global_store_b128 v[8:9], v[4:7], off
	v_add_co_u32 v8, vcc_lo, v8, s5
	v_add_co_ci_u32_e32 v9, vcc_lo, s4, v9, vcc_lo
	s_waitcnt vmcnt(0) lgkmcnt(0)
	v_mul_f64 v[4:5], v[12:13], v[2:3]
	s_delay_alu instid0(VALU_DEP_1) | instskip(SKIP_1) | instid1(VALU_DEP_2)
	v_fma_f64 v[4:5], v[10:11], v[0:1], v[4:5]
	v_mul_f64 v[0:1], v[12:13], v[0:1]
	v_mul_f64 v[4:5], v[4:5], s[2:3]
	s_delay_alu instid0(VALU_DEP_2)
	v_fma_f64 v[0:1], v[10:11], v[2:3], -v[0:1]
	scratch_load_b128 v[10:13], off, off offset:220 ; 16-byte Folded Reload
	v_mul_f64 v[6:7], v[0:1], s[2:3]
	ds_load_b128 v[0:3], v196 offset:28224
	global_store_b128 v[8:9], v[4:7], off
	v_add_co_u32 v8, vcc_lo, v8, s5
	v_add_co_ci_u32_e32 v9, vcc_lo, s4, v9, vcc_lo
	s_waitcnt vmcnt(0) lgkmcnt(0)
	v_mul_f64 v[4:5], v[12:13], v[2:3]
	s_delay_alu instid0(VALU_DEP_1) | instskip(SKIP_1) | instid1(VALU_DEP_2)
	v_fma_f64 v[4:5], v[10:11], v[0:1], v[4:5]
	v_mul_f64 v[0:1], v[12:13], v[0:1]
	v_mul_f64 v[4:5], v[4:5], s[2:3]
	s_delay_alu instid0(VALU_DEP_2)
	v_fma_f64 v[0:1], v[10:11], v[2:3], -v[0:1]
	scratch_load_b128 v[10:13], off, off offset:236 ; 16-byte Folded Reload
	v_mul_f64 v[6:7], v[0:1], s[2:3]
	ds_load_b128 v[0:3], v196 offset:33712
	global_store_b128 v[8:9], v[4:7], off
	v_add_co_u32 v8, vcc_lo, v8, s5
	v_add_co_ci_u32_e32 v9, vcc_lo, s4, v9, vcc_lo
	s_waitcnt vmcnt(0) lgkmcnt(0)
	v_mul_f64 v[4:5], v[12:13], v[2:3]
	s_delay_alu instid0(VALU_DEP_1) | instskip(SKIP_1) | instid1(VALU_DEP_2)
	v_fma_f64 v[4:5], v[10:11], v[0:1], v[4:5]
	v_mul_f64 v[0:1], v[12:13], v[0:1]
	v_mul_f64 v[4:5], v[4:5], s[2:3]
	s_delay_alu instid0(VALU_DEP_2)
	v_fma_f64 v[0:1], v[10:11], v[2:3], -v[0:1]
	scratch_load_b128 v[10:13], off, off offset:268 ; 16-byte Folded Reload
	v_mul_f64 v[6:7], v[0:1], s[2:3]
	ds_load_b128 v[0:3], v196 offset:1568
	global_store_b128 v[8:9], v[4:7], off
	v_add_co_u32 v8, vcc_lo, v8, s0
	v_add_co_ci_u32_e32 v9, vcc_lo, s1, v9, vcc_lo
	s_waitcnt vmcnt(0) lgkmcnt(0)
	v_mul_f64 v[4:5], v[12:13], v[2:3]
	s_delay_alu instid0(VALU_DEP_1) | instskip(SKIP_1) | instid1(VALU_DEP_2)
	v_fma_f64 v[4:5], v[10:11], v[0:1], v[4:5]
	v_mul_f64 v[0:1], v[12:13], v[0:1]
	v_mul_f64 v[4:5], v[4:5], s[2:3]
	s_delay_alu instid0(VALU_DEP_2)
	v_fma_f64 v[0:1], v[10:11], v[2:3], -v[0:1]
	scratch_load_b128 v[10:13], off, off offset:252 ; 16-byte Folded Reload
	v_mul_f64 v[6:7], v[0:1], s[2:3]
	ds_load_b128 v[0:3], v196 offset:7056
	global_store_b128 v[8:9], v[4:7], off
	v_add_co_u32 v8, vcc_lo, v8, s5
	v_add_co_ci_u32_e32 v9, vcc_lo, s4, v9, vcc_lo
	s_waitcnt vmcnt(0) lgkmcnt(0)
	v_mul_f64 v[4:5], v[12:13], v[2:3]
	s_delay_alu instid0(VALU_DEP_1) | instskip(SKIP_1) | instid1(VALU_DEP_2)
	v_fma_f64 v[4:5], v[10:11], v[0:1], v[4:5]
	v_mul_f64 v[0:1], v[12:13], v[0:1]
	v_mul_f64 v[4:5], v[4:5], s[2:3]
	s_delay_alu instid0(VALU_DEP_2)
	v_fma_f64 v[0:1], v[10:11], v[2:3], -v[0:1]
	scratch_load_b128 v[10:13], off, off offset:284 ; 16-byte Folded Reload
	v_mul_f64 v[6:7], v[0:1], s[2:3]
	ds_load_b128 v[0:3], v196 offset:12544
	global_store_b128 v[8:9], v[4:7], off
	v_add_co_u32 v8, vcc_lo, v8, s5
	v_add_co_ci_u32_e32 v9, vcc_lo, s4, v9, vcc_lo
	s_waitcnt vmcnt(0) lgkmcnt(0)
	v_mul_f64 v[4:5], v[12:13], v[2:3]
	s_delay_alu instid0(VALU_DEP_1) | instskip(SKIP_1) | instid1(VALU_DEP_2)
	v_fma_f64 v[4:5], v[10:11], v[0:1], v[4:5]
	v_mul_f64 v[0:1], v[12:13], v[0:1]
	v_mul_f64 v[4:5], v[4:5], s[2:3]
	s_delay_alu instid0(VALU_DEP_2)
	v_fma_f64 v[0:1], v[10:11], v[2:3], -v[0:1]
	scratch_load_b128 v[10:13], off, off offset:316 ; 16-byte Folded Reload
	v_mul_f64 v[6:7], v[0:1], s[2:3]
	ds_load_b128 v[0:3], v196 offset:18032
	global_store_b128 v[8:9], v[4:7], off
	v_add_co_u32 v8, vcc_lo, v8, s5
	v_add_co_ci_u32_e32 v9, vcc_lo, s4, v9, vcc_lo
	s_waitcnt vmcnt(0) lgkmcnt(0)
	v_mul_f64 v[4:5], v[12:13], v[2:3]
	s_delay_alu instid0(VALU_DEP_1) | instskip(SKIP_1) | instid1(VALU_DEP_2)
	v_fma_f64 v[4:5], v[10:11], v[0:1], v[4:5]
	v_mul_f64 v[0:1], v[12:13], v[0:1]
	v_mul_f64 v[4:5], v[4:5], s[2:3]
	s_delay_alu instid0(VALU_DEP_2)
	v_fma_f64 v[0:1], v[10:11], v[2:3], -v[0:1]
	scratch_load_b128 v[10:13], off, off offset:300 ; 16-byte Folded Reload
	v_mul_f64 v[6:7], v[0:1], s[2:3]
	ds_load_b128 v[0:3], v196 offset:23520
	global_store_b128 v[8:9], v[4:7], off
	v_add_co_u32 v8, vcc_lo, v8, s5
	v_add_co_ci_u32_e32 v9, vcc_lo, s4, v9, vcc_lo
	s_waitcnt vmcnt(0) lgkmcnt(0)
	v_mul_f64 v[4:5], v[12:13], v[2:3]
	s_delay_alu instid0(VALU_DEP_1) | instskip(SKIP_1) | instid1(VALU_DEP_2)
	v_fma_f64 v[4:5], v[10:11], v[0:1], v[4:5]
	v_mul_f64 v[0:1], v[12:13], v[0:1]
	v_mul_f64 v[4:5], v[4:5], s[2:3]
	s_delay_alu instid0(VALU_DEP_2)
	v_fma_f64 v[0:1], v[10:11], v[2:3], -v[0:1]
	scratch_load_b128 v[10:13], off, off offset:332 ; 16-byte Folded Reload
	v_mul_f64 v[6:7], v[0:1], s[2:3]
	ds_load_b128 v[0:3], v196 offset:29008
	global_store_b128 v[8:9], v[4:7], off
	v_add_co_u32 v8, vcc_lo, v8, s5
	v_add_co_ci_u32_e32 v9, vcc_lo, s4, v9, vcc_lo
	s_waitcnt vmcnt(0) lgkmcnt(0)
	v_mul_f64 v[4:5], v[12:13], v[2:3]
	s_delay_alu instid0(VALU_DEP_1) | instskip(SKIP_1) | instid1(VALU_DEP_2)
	v_fma_f64 v[4:5], v[10:11], v[0:1], v[4:5]
	v_mul_f64 v[0:1], v[12:13], v[0:1]
	v_mul_f64 v[4:5], v[4:5], s[2:3]
	s_delay_alu instid0(VALU_DEP_2)
	v_fma_f64 v[0:1], v[10:11], v[2:3], -v[0:1]
	scratch_load_b128 v[10:13], off, off offset:668 ; 16-byte Folded Reload
	v_mul_f64 v[6:7], v[0:1], s[2:3]
	ds_load_b128 v[0:3], v196 offset:34496
	global_store_b128 v[8:9], v[4:7], off
	v_add_co_u32 v8, vcc_lo, v8, s5
	v_add_co_ci_u32_e32 v9, vcc_lo, s4, v9, vcc_lo
	s_waitcnt vmcnt(0) lgkmcnt(0)
	v_mul_f64 v[4:5], v[12:13], v[2:3]
	s_delay_alu instid0(VALU_DEP_1) | instskip(SKIP_1) | instid1(VALU_DEP_2)
	v_fma_f64 v[4:5], v[10:11], v[0:1], v[4:5]
	v_mul_f64 v[0:1], v[12:13], v[0:1]
	v_mul_f64 v[4:5], v[4:5], s[2:3]
	s_delay_alu instid0(VALU_DEP_2)
	v_fma_f64 v[0:1], v[10:11], v[2:3], -v[0:1]
	scratch_load_b128 v[10:13], off, off offset:684 ; 16-byte Folded Reload
	v_mul_f64 v[6:7], v[0:1], s[2:3]
	ds_load_b128 v[0:3], v196 offset:2352
	global_store_b128 v[8:9], v[4:7], off
	v_add_co_u32 v8, vcc_lo, v8, s0
	v_add_co_ci_u32_e32 v9, vcc_lo, s1, v9, vcc_lo
	s_waitcnt vmcnt(0) lgkmcnt(0)
	v_mul_f64 v[4:5], v[12:13], v[2:3]
	s_delay_alu instid0(VALU_DEP_1) | instskip(SKIP_1) | instid1(VALU_DEP_2)
	v_fma_f64 v[4:5], v[10:11], v[0:1], v[4:5]
	v_mul_f64 v[0:1], v[12:13], v[0:1]
	v_mul_f64 v[4:5], v[4:5], s[2:3]
	s_delay_alu instid0(VALU_DEP_2)
	v_fma_f64 v[0:1], v[10:11], v[2:3], -v[0:1]
	scratch_load_b128 v[10:13], off, off offset:652 ; 16-byte Folded Reload
	v_mul_f64 v[6:7], v[0:1], s[2:3]
	ds_load_b128 v[0:3], v196 offset:7840
	global_store_b128 v[8:9], v[4:7], off
	v_add_co_u32 v8, vcc_lo, v8, s5
	v_add_co_ci_u32_e32 v9, vcc_lo, s4, v9, vcc_lo
	s_waitcnt vmcnt(0) lgkmcnt(0)
	v_mul_f64 v[4:5], v[12:13], v[2:3]
	s_delay_alu instid0(VALU_DEP_1) | instskip(SKIP_1) | instid1(VALU_DEP_2)
	v_fma_f64 v[4:5], v[10:11], v[0:1], v[4:5]
	v_mul_f64 v[0:1], v[12:13], v[0:1]
	v_mul_f64 v[4:5], v[4:5], s[2:3]
	s_delay_alu instid0(VALU_DEP_2)
	v_fma_f64 v[0:1], v[10:11], v[2:3], -v[0:1]
	scratch_load_b128 v[10:13], off, off offset:636 ; 16-byte Folded Reload
	v_mul_f64 v[6:7], v[0:1], s[2:3]
	ds_load_b128 v[0:3], v196 offset:13328
	global_store_b128 v[8:9], v[4:7], off
	v_add_co_u32 v8, vcc_lo, v8, s5
	v_add_co_ci_u32_e32 v9, vcc_lo, s4, v9, vcc_lo
	s_waitcnt vmcnt(0) lgkmcnt(0)
	v_mul_f64 v[4:5], v[12:13], v[2:3]
	s_delay_alu instid0(VALU_DEP_1) | instskip(SKIP_1) | instid1(VALU_DEP_2)
	v_fma_f64 v[4:5], v[10:11], v[0:1], v[4:5]
	v_mul_f64 v[0:1], v[12:13], v[0:1]
	v_mul_f64 v[4:5], v[4:5], s[2:3]
	s_delay_alu instid0(VALU_DEP_2)
	v_fma_f64 v[0:1], v[10:11], v[2:3], -v[0:1]
	scratch_load_b128 v[10:13], off, off offset:620 ; 16-byte Folded Reload
	v_mul_f64 v[6:7], v[0:1], s[2:3]
	ds_load_b128 v[0:3], v196 offset:18816
	global_store_b128 v[8:9], v[4:7], off
	v_add_co_u32 v8, vcc_lo, v8, s5
	v_add_co_ci_u32_e32 v9, vcc_lo, s4, v9, vcc_lo
	s_waitcnt vmcnt(0) lgkmcnt(0)
	v_mul_f64 v[4:5], v[12:13], v[2:3]
	s_delay_alu instid0(VALU_DEP_1) | instskip(SKIP_1) | instid1(VALU_DEP_2)
	v_fma_f64 v[4:5], v[10:11], v[0:1], v[4:5]
	v_mul_f64 v[0:1], v[12:13], v[0:1]
	v_mul_f64 v[4:5], v[4:5], s[2:3]
	s_delay_alu instid0(VALU_DEP_2)
	v_fma_f64 v[0:1], v[10:11], v[2:3], -v[0:1]
	scratch_load_b128 v[10:13], off, off offset:604 ; 16-byte Folded Reload
	v_mul_f64 v[6:7], v[0:1], s[2:3]
	ds_load_b128 v[0:3], v196 offset:24304
	global_store_b128 v[8:9], v[4:7], off
	v_add_co_u32 v8, vcc_lo, v8, s5
	v_add_co_ci_u32_e32 v9, vcc_lo, s4, v9, vcc_lo
	s_waitcnt vmcnt(0) lgkmcnt(0)
	v_mul_f64 v[4:5], v[12:13], v[2:3]
	s_delay_alu instid0(VALU_DEP_1) | instskip(SKIP_1) | instid1(VALU_DEP_2)
	v_fma_f64 v[4:5], v[10:11], v[0:1], v[4:5]
	v_mul_f64 v[0:1], v[12:13], v[0:1]
	v_mul_f64 v[4:5], v[4:5], s[2:3]
	s_delay_alu instid0(VALU_DEP_2)
	v_fma_f64 v[0:1], v[10:11], v[2:3], -v[0:1]
	scratch_load_b128 v[10:13], off, off offset:588 ; 16-byte Folded Reload
	v_mul_f64 v[6:7], v[0:1], s[2:3]
	ds_load_b128 v[0:3], v196 offset:29792
	global_store_b128 v[8:9], v[4:7], off
	v_add_co_u32 v8, vcc_lo, v8, s5
	v_add_co_ci_u32_e32 v9, vcc_lo, s4, v9, vcc_lo
	s_waitcnt vmcnt(0) lgkmcnt(0)
	v_mul_f64 v[4:5], v[12:13], v[2:3]
	s_delay_alu instid0(VALU_DEP_1) | instskip(SKIP_1) | instid1(VALU_DEP_2)
	v_fma_f64 v[4:5], v[10:11], v[0:1], v[4:5]
	v_mul_f64 v[0:1], v[12:13], v[0:1]
	v_mul_f64 v[4:5], v[4:5], s[2:3]
	s_delay_alu instid0(VALU_DEP_2)
	v_fma_f64 v[0:1], v[10:11], v[2:3], -v[0:1]
	scratch_load_b128 v[10:13], off, off offset:556 ; 16-byte Folded Reload
	v_mul_f64 v[6:7], v[0:1], s[2:3]
	ds_load_b128 v[0:3], v196 offset:35280
	global_store_b128 v[8:9], v[4:7], off
	v_add_co_u32 v8, vcc_lo, v8, s5
	v_add_co_ci_u32_e32 v9, vcc_lo, s4, v9, vcc_lo
	s_waitcnt vmcnt(0) lgkmcnt(0)
	v_mul_f64 v[4:5], v[12:13], v[2:3]
	s_delay_alu instid0(VALU_DEP_1) | instskip(SKIP_1) | instid1(VALU_DEP_2)
	v_fma_f64 v[4:5], v[10:11], v[0:1], v[4:5]
	v_mul_f64 v[0:1], v[12:13], v[0:1]
	v_mul_f64 v[4:5], v[4:5], s[2:3]
	s_delay_alu instid0(VALU_DEP_2)
	v_fma_f64 v[0:1], v[10:11], v[2:3], -v[0:1]
	scratch_load_b128 v[10:13], off, off offset:572 ; 16-byte Folded Reload
	v_mul_f64 v[6:7], v[0:1], s[2:3]
	ds_load_b128 v[0:3], v196 offset:3136
	global_store_b128 v[8:9], v[4:7], off
	v_add_co_u32 v8, vcc_lo, v8, s0
	v_add_co_ci_u32_e32 v9, vcc_lo, s1, v9, vcc_lo
	s_waitcnt vmcnt(0) lgkmcnt(0)
	v_mul_f64 v[4:5], v[12:13], v[2:3]
	s_delay_alu instid0(VALU_DEP_1) | instskip(SKIP_1) | instid1(VALU_DEP_2)
	v_fma_f64 v[4:5], v[10:11], v[0:1], v[4:5]
	v_mul_f64 v[0:1], v[12:13], v[0:1]
	v_mul_f64 v[4:5], v[4:5], s[2:3]
	s_delay_alu instid0(VALU_DEP_2)
	v_fma_f64 v[0:1], v[10:11], v[2:3], -v[0:1]
	scratch_load_b128 v[10:13], off, off offset:540 ; 16-byte Folded Reload
	v_mul_f64 v[6:7], v[0:1], s[2:3]
	ds_load_b128 v[0:3], v196 offset:8624
	global_store_b128 v[8:9], v[4:7], off
	v_add_co_u32 v8, vcc_lo, v8, s5
	v_add_co_ci_u32_e32 v9, vcc_lo, s4, v9, vcc_lo
	s_waitcnt vmcnt(0) lgkmcnt(0)
	v_mul_f64 v[4:5], v[12:13], v[2:3]
	s_delay_alu instid0(VALU_DEP_1) | instskip(SKIP_1) | instid1(VALU_DEP_2)
	v_fma_f64 v[4:5], v[10:11], v[0:1], v[4:5]
	v_mul_f64 v[0:1], v[12:13], v[0:1]
	v_mul_f64 v[4:5], v[4:5], s[2:3]
	s_delay_alu instid0(VALU_DEP_2)
	v_fma_f64 v[0:1], v[10:11], v[2:3], -v[0:1]
	scratch_load_b128 v[10:13], off, off offset:524 ; 16-byte Folded Reload
	v_mul_f64 v[6:7], v[0:1], s[2:3]
	ds_load_b128 v[0:3], v196 offset:14112
	global_store_b128 v[8:9], v[4:7], off
	v_add_co_u32 v8, vcc_lo, v8, s5
	v_add_co_ci_u32_e32 v9, vcc_lo, s4, v9, vcc_lo
	s_waitcnt vmcnt(0) lgkmcnt(0)
	v_mul_f64 v[4:5], v[12:13], v[2:3]
	s_delay_alu instid0(VALU_DEP_1) | instskip(SKIP_1) | instid1(VALU_DEP_2)
	v_fma_f64 v[4:5], v[10:11], v[0:1], v[4:5]
	v_mul_f64 v[0:1], v[12:13], v[0:1]
	v_mul_f64 v[4:5], v[4:5], s[2:3]
	s_delay_alu instid0(VALU_DEP_2)
	v_fma_f64 v[0:1], v[10:11], v[2:3], -v[0:1]
	scratch_load_b128 v[10:13], off, off offset:508 ; 16-byte Folded Reload
	v_mul_f64 v[6:7], v[0:1], s[2:3]
	ds_load_b128 v[0:3], v196 offset:19600
	global_store_b128 v[8:9], v[4:7], off
	v_add_co_u32 v8, vcc_lo, v8, s5
	v_add_co_ci_u32_e32 v9, vcc_lo, s4, v9, vcc_lo
	s_waitcnt vmcnt(0) lgkmcnt(0)
	v_mul_f64 v[4:5], v[12:13], v[2:3]
	s_delay_alu instid0(VALU_DEP_1) | instskip(SKIP_1) | instid1(VALU_DEP_2)
	v_fma_f64 v[4:5], v[10:11], v[0:1], v[4:5]
	v_mul_f64 v[0:1], v[12:13], v[0:1]
	v_mul_f64 v[4:5], v[4:5], s[2:3]
	s_delay_alu instid0(VALU_DEP_2)
	v_fma_f64 v[0:1], v[10:11], v[2:3], -v[0:1]
	scratch_load_b128 v[10:13], off, off offset:492 ; 16-byte Folded Reload
	v_mul_f64 v[6:7], v[0:1], s[2:3]
	ds_load_b128 v[0:3], v196 offset:25088
	global_store_b128 v[8:9], v[4:7], off
	v_add_co_u32 v8, vcc_lo, v8, s5
	v_add_co_ci_u32_e32 v9, vcc_lo, s4, v9, vcc_lo
	s_waitcnt vmcnt(0) lgkmcnt(0)
	v_mul_f64 v[4:5], v[12:13], v[2:3]
	s_delay_alu instid0(VALU_DEP_1) | instskip(SKIP_1) | instid1(VALU_DEP_2)
	v_fma_f64 v[4:5], v[10:11], v[0:1], v[4:5]
	v_mul_f64 v[0:1], v[12:13], v[0:1]
	v_mul_f64 v[4:5], v[4:5], s[2:3]
	s_delay_alu instid0(VALU_DEP_2)
	v_fma_f64 v[0:1], v[10:11], v[2:3], -v[0:1]
	scratch_load_b128 v[10:13], off, off offset:476 ; 16-byte Folded Reload
	v_mul_f64 v[6:7], v[0:1], s[2:3]
	ds_load_b128 v[0:3], v196 offset:30576
	global_store_b128 v[8:9], v[4:7], off
	v_add_co_u32 v8, vcc_lo, v8, s5
	v_add_co_ci_u32_e32 v9, vcc_lo, s4, v9, vcc_lo
	s_waitcnt vmcnt(0) lgkmcnt(0)
	v_mul_f64 v[4:5], v[12:13], v[2:3]
	s_delay_alu instid0(VALU_DEP_1) | instskip(SKIP_1) | instid1(VALU_DEP_2)
	v_fma_f64 v[4:5], v[10:11], v[0:1], v[4:5]
	v_mul_f64 v[0:1], v[12:13], v[0:1]
	v_mul_f64 v[4:5], v[4:5], s[2:3]
	s_delay_alu instid0(VALU_DEP_2)
	v_fma_f64 v[0:1], v[10:11], v[2:3], -v[0:1]
	scratch_load_b128 v[10:13], off, off offset:444 ; 16-byte Folded Reload
	v_mul_f64 v[6:7], v[0:1], s[2:3]
	ds_load_b128 v[0:3], v196 offset:36064
	global_store_b128 v[8:9], v[4:7], off
	v_add_co_u32 v8, vcc_lo, v8, s5
	v_add_co_ci_u32_e32 v9, vcc_lo, s4, v9, vcc_lo
	s_waitcnt vmcnt(0) lgkmcnt(0)
	v_mul_f64 v[4:5], v[12:13], v[2:3]
	s_delay_alu instid0(VALU_DEP_1) | instskip(SKIP_1) | instid1(VALU_DEP_2)
	v_fma_f64 v[4:5], v[10:11], v[0:1], v[4:5]
	v_mul_f64 v[0:1], v[12:13], v[0:1]
	v_mul_f64 v[4:5], v[4:5], s[2:3]
	s_delay_alu instid0(VALU_DEP_2)
	v_fma_f64 v[0:1], v[10:11], v[2:3], -v[0:1]
	scratch_load_b128 v[10:13], off, off offset:460 ; 16-byte Folded Reload
	v_mul_f64 v[6:7], v[0:1], s[2:3]
	ds_load_b128 v[0:3], v196 offset:3920
	global_store_b128 v[8:9], v[4:7], off
	v_add_co_u32 v8, vcc_lo, v8, s0
	v_add_co_ci_u32_e32 v9, vcc_lo, s1, v9, vcc_lo
	s_waitcnt vmcnt(0) lgkmcnt(0)
	v_mul_f64 v[4:5], v[12:13], v[2:3]
	s_delay_alu instid0(VALU_DEP_1) | instskip(SKIP_1) | instid1(VALU_DEP_2)
	v_fma_f64 v[4:5], v[10:11], v[0:1], v[4:5]
	v_mul_f64 v[0:1], v[12:13], v[0:1]
	v_mul_f64 v[4:5], v[4:5], s[2:3]
	s_delay_alu instid0(VALU_DEP_2)
	v_fma_f64 v[0:1], v[10:11], v[2:3], -v[0:1]
	scratch_load_b128 v[10:13], off, off offset:428 ; 16-byte Folded Reload
	v_mul_f64 v[6:7], v[0:1], s[2:3]
	ds_load_b128 v[0:3], v196 offset:9408
	global_store_b128 v[8:9], v[4:7], off
	v_add_co_u32 v8, vcc_lo, v8, s5
	v_add_co_ci_u32_e32 v9, vcc_lo, s4, v9, vcc_lo
	s_waitcnt vmcnt(0) lgkmcnt(0)
	v_mul_f64 v[4:5], v[12:13], v[2:3]
	s_delay_alu instid0(VALU_DEP_1) | instskip(SKIP_1) | instid1(VALU_DEP_2)
	v_fma_f64 v[4:5], v[10:11], v[0:1], v[4:5]
	v_mul_f64 v[0:1], v[12:13], v[0:1]
	v_mul_f64 v[4:5], v[4:5], s[2:3]
	s_delay_alu instid0(VALU_DEP_2)
	v_fma_f64 v[0:1], v[10:11], v[2:3], -v[0:1]
	scratch_load_b128 v[10:13], off, off offset:412 ; 16-byte Folded Reload
	v_mul_f64 v[6:7], v[0:1], s[2:3]
	ds_load_b128 v[0:3], v196 offset:14896
	global_store_b128 v[8:9], v[4:7], off
	v_add_co_u32 v8, vcc_lo, v8, s5
	v_add_co_ci_u32_e32 v9, vcc_lo, s4, v9, vcc_lo
	s_waitcnt vmcnt(0) lgkmcnt(0)
	v_mul_f64 v[4:5], v[12:13], v[2:3]
	s_delay_alu instid0(VALU_DEP_1) | instskip(SKIP_1) | instid1(VALU_DEP_2)
	v_fma_f64 v[4:5], v[10:11], v[0:1], v[4:5]
	v_mul_f64 v[0:1], v[12:13], v[0:1]
	v_mul_f64 v[4:5], v[4:5], s[2:3]
	s_delay_alu instid0(VALU_DEP_2)
	v_fma_f64 v[0:1], v[10:11], v[2:3], -v[0:1]
	scratch_load_b128 v[10:13], off, off offset:396 ; 16-byte Folded Reload
	v_mul_f64 v[6:7], v[0:1], s[2:3]
	ds_load_b128 v[0:3], v196 offset:20384
	global_store_b128 v[8:9], v[4:7], off
	v_add_co_u32 v8, vcc_lo, v8, s5
	v_add_co_ci_u32_e32 v9, vcc_lo, s4, v9, vcc_lo
	s_waitcnt vmcnt(0) lgkmcnt(0)
	v_mul_f64 v[4:5], v[12:13], v[2:3]
	s_delay_alu instid0(VALU_DEP_1) | instskip(SKIP_1) | instid1(VALU_DEP_2)
	v_fma_f64 v[4:5], v[10:11], v[0:1], v[4:5]
	v_mul_f64 v[0:1], v[12:13], v[0:1]
	v_mul_f64 v[4:5], v[4:5], s[2:3]
	s_delay_alu instid0(VALU_DEP_2)
	v_fma_f64 v[0:1], v[10:11], v[2:3], -v[0:1]
	scratch_load_b128 v[10:13], off, off offset:380 ; 16-byte Folded Reload
	v_mul_f64 v[6:7], v[0:1], s[2:3]
	ds_load_b128 v[0:3], v196 offset:25872
	global_store_b128 v[8:9], v[4:7], off
	v_add_co_u32 v8, vcc_lo, v8, s5
	v_add_co_ci_u32_e32 v9, vcc_lo, s4, v9, vcc_lo
	s_waitcnt vmcnt(0) lgkmcnt(0)
	v_mul_f64 v[4:5], v[12:13], v[2:3]
	s_delay_alu instid0(VALU_DEP_1) | instskip(SKIP_1) | instid1(VALU_DEP_2)
	v_fma_f64 v[4:5], v[10:11], v[0:1], v[4:5]
	v_mul_f64 v[0:1], v[12:13], v[0:1]
	v_mul_f64 v[4:5], v[4:5], s[2:3]
	s_delay_alu instid0(VALU_DEP_2)
	v_fma_f64 v[0:1], v[10:11], v[2:3], -v[0:1]
	scratch_load_b128 v[10:13], off, off offset:364 ; 16-byte Folded Reload
	v_mul_f64 v[6:7], v[0:1], s[2:3]
	ds_load_b128 v[0:3], v196 offset:31360
	global_store_b128 v[8:9], v[4:7], off
	v_add_co_u32 v8, vcc_lo, v8, s5
	v_add_co_ci_u32_e32 v9, vcc_lo, s4, v9, vcc_lo
	s_waitcnt vmcnt(0) lgkmcnt(0)
	v_mul_f64 v[4:5], v[12:13], v[2:3]
	s_delay_alu instid0(VALU_DEP_1) | instskip(SKIP_1) | instid1(VALU_DEP_2)
	v_fma_f64 v[4:5], v[10:11], v[0:1], v[4:5]
	v_mul_f64 v[0:1], v[12:13], v[0:1]
	v_mul_f64 v[4:5], v[4:5], s[2:3]
	s_delay_alu instid0(VALU_DEP_2)
	v_fma_f64 v[0:1], v[10:11], v[2:3], -v[0:1]
	scratch_load_b128 v[10:13], off, off offset:348 ; 16-byte Folded Reload
	v_mul_f64 v[6:7], v[0:1], s[2:3]
	ds_load_b128 v[0:3], v196 offset:36848
	global_store_b128 v[8:9], v[4:7], off
	v_add_co_u32 v8, vcc_lo, v8, s5
	v_add_co_ci_u32_e32 v9, vcc_lo, s4, v9, vcc_lo
	s_waitcnt vmcnt(0) lgkmcnt(0)
	v_mul_f64 v[4:5], v[12:13], v[2:3]
	s_delay_alu instid0(VALU_DEP_1) | instskip(SKIP_1) | instid1(VALU_DEP_2)
	v_fma_f64 v[4:5], v[10:11], v[0:1], v[4:5]
	v_mul_f64 v[0:1], v[12:13], v[0:1]
	v_mul_f64 v[4:5], v[4:5], s[2:3]
	s_delay_alu instid0(VALU_DEP_2)
	v_fma_f64 v[0:1], v[10:11], v[2:3], -v[0:1]
	scratch_load_b128 v[10:13], off, off offset:700 ; 16-byte Folded Reload
	v_mul_f64 v[6:7], v[0:1], s[2:3]
	ds_load_b128 v[0:3], v196 offset:4704
	global_store_b128 v[8:9], v[4:7], off
	v_add_co_u32 v8, vcc_lo, v8, s0
	v_add_co_ci_u32_e32 v9, vcc_lo, s1, v9, vcc_lo
	s_waitcnt vmcnt(0) lgkmcnt(0)
	v_mul_f64 v[4:5], v[12:13], v[2:3]
	s_delay_alu instid0(VALU_DEP_1) | instskip(SKIP_1) | instid1(VALU_DEP_2)
	v_fma_f64 v[4:5], v[10:11], v[0:1], v[4:5]
	v_mul_f64 v[0:1], v[12:13], v[0:1]
	v_mul_f64 v[4:5], v[4:5], s[2:3]
	s_delay_alu instid0(VALU_DEP_2)
	v_fma_f64 v[0:1], v[10:11], v[2:3], -v[0:1]
	scratch_load_b128 v[10:13], off, off offset:732 ; 16-byte Folded Reload
	v_mul_f64 v[6:7], v[0:1], s[2:3]
	ds_load_b128 v[0:3], v196 offset:10192
	global_store_b128 v[8:9], v[4:7], off
	v_add_co_u32 v8, vcc_lo, v8, s5
	v_add_co_ci_u32_e32 v9, vcc_lo, s4, v9, vcc_lo
	s_waitcnt vmcnt(0) lgkmcnt(0)
	v_mul_f64 v[4:5], v[12:13], v[2:3]
	s_delay_alu instid0(VALU_DEP_1) | instskip(SKIP_1) | instid1(VALU_DEP_2)
	v_fma_f64 v[4:5], v[10:11], v[0:1], v[4:5]
	v_mul_f64 v[0:1], v[12:13], v[0:1]
	v_mul_f64 v[4:5], v[4:5], s[2:3]
	s_delay_alu instid0(VALU_DEP_2)
	v_fma_f64 v[0:1], v[10:11], v[2:3], -v[0:1]
	scratch_load_b128 v[10:13], off, off offset:716 ; 16-byte Folded Reload
	v_mul_f64 v[6:7], v[0:1], s[2:3]
	ds_load_b128 v[0:3], v196 offset:15680
	global_store_b128 v[8:9], v[4:7], off
	v_add_co_u32 v8, vcc_lo, v8, s5
	v_add_co_ci_u32_e32 v9, vcc_lo, s4, v9, vcc_lo
	s_waitcnt vmcnt(0) lgkmcnt(0)
	v_mul_f64 v[4:5], v[12:13], v[2:3]
	s_delay_alu instid0(VALU_DEP_1) | instskip(SKIP_1) | instid1(VALU_DEP_2)
	v_fma_f64 v[4:5], v[10:11], v[0:1], v[4:5]
	v_mul_f64 v[0:1], v[12:13], v[0:1]
	v_mul_f64 v[4:5], v[4:5], s[2:3]
	s_delay_alu instid0(VALU_DEP_2)
	v_fma_f64 v[0:1], v[10:11], v[2:3], -v[0:1]
	scratch_load_b128 v[10:13], off, off offset:748 ; 16-byte Folded Reload
	v_mul_f64 v[6:7], v[0:1], s[2:3]
	ds_load_b128 v[0:3], v196 offset:21168
	global_store_b128 v[8:9], v[4:7], off
	v_add_co_u32 v8, vcc_lo, v8, s5
	v_add_co_ci_u32_e32 v9, vcc_lo, s4, v9, vcc_lo
	s_waitcnt vmcnt(0) lgkmcnt(0)
	v_mul_f64 v[4:5], v[12:13], v[2:3]
	s_delay_alu instid0(VALU_DEP_1) | instskip(SKIP_1) | instid1(VALU_DEP_2)
	v_fma_f64 v[4:5], v[10:11], v[0:1], v[4:5]
	v_mul_f64 v[0:1], v[12:13], v[0:1]
	v_mul_f64 v[4:5], v[4:5], s[2:3]
	s_delay_alu instid0(VALU_DEP_2)
	v_fma_f64 v[0:1], v[10:11], v[2:3], -v[0:1]
	scratch_load_b128 v[10:13], off, off offset:764 ; 16-byte Folded Reload
	v_mul_f64 v[6:7], v[0:1], s[2:3]
	ds_load_b128 v[0:3], v196 offset:26656
	global_store_b128 v[8:9], v[4:7], off
	s_waitcnt vmcnt(0) lgkmcnt(0)
	v_mul_f64 v[4:5], v[12:13], v[2:3]
	s_delay_alu instid0(VALU_DEP_1)
	v_fma_f64 v[4:5], v[10:11], v[0:1], v[4:5]
	v_mul_f64 v[0:1], v[12:13], v[0:1]
	scratch_load_b128 v[12:15], off, off offset:780 ; 16-byte Folded Reload
	v_mul_f64 v[4:5], v[4:5], s[2:3]
	v_fma_f64 v[0:1], v[10:11], v[2:3], -v[0:1]
	v_add_co_u32 v10, vcc_lo, v8, s5
	v_add_co_ci_u32_e32 v11, vcc_lo, s4, v9, vcc_lo
	s_delay_alu instid0(VALU_DEP_3) | instskip(SKIP_4) | instid1(VALU_DEP_1)
	v_mul_f64 v[6:7], v[0:1], s[2:3]
	ds_load_b128 v[0:3], v196 offset:32144
	global_store_b128 v[10:11], v[4:7], off
	s_waitcnt vmcnt(0) lgkmcnt(0)
	v_mul_f64 v[4:5], v[14:15], v[2:3]
	v_fma_f64 v[4:5], v[12:13], v[0:1], v[4:5]
	v_mul_f64 v[0:1], v[14:15], v[0:1]
	s_delay_alu instid0(VALU_DEP_2) | instskip(NEXT) | instid1(VALU_DEP_2)
	v_mul_f64 v[6:7], v[4:5], s[2:3]
	v_fma_f64 v[0:1], v[12:13], v[2:3], -v[0:1]
	v_add_co_u32 v4, vcc_lo, v10, s5
	v_add_co_ci_u32_e32 v5, vcc_lo, s4, v11, vcc_lo
	s_delay_alu instid0(VALU_DEP_3)
	v_mul_f64 v[8:9], v[0:1], s[2:3]
	ds_load_b128 v[0:3], v196 offset:37632
	global_store_b128 v[4:5], v[6:9], off
	scratch_load_b128 v[8:11], off, off offset:4 ; 16-byte Folded Reload
	s_waitcnt vmcnt(0) lgkmcnt(0)
	v_mul_f64 v[6:7], v[10:11], v[2:3]
	s_delay_alu instid0(VALU_DEP_1) | instskip(SKIP_1) | instid1(VALU_DEP_2)
	v_fma_f64 v[6:7], v[8:9], v[0:1], v[6:7]
	v_mul_f64 v[0:1], v[10:11], v[0:1]
	v_mul_f64 v[6:7], v[6:7], s[2:3]
	s_delay_alu instid0(VALU_DEP_2) | instskip(NEXT) | instid1(VALU_DEP_1)
	v_fma_f64 v[0:1], v[8:9], v[2:3], -v[0:1]
	v_mul_f64 v[8:9], v[0:1], s[2:3]
	v_add_co_u32 v0, vcc_lo, v4, s5
	v_add_co_ci_u32_e32 v1, vcc_lo, s4, v5, vcc_lo
	global_store_b128 v[0:1], v[6:9], off
.LBB0_2:
	s_nop 0
	s_sendmsg sendmsg(MSG_DEALLOC_VGPRS)
	s_endpgm
	.section	.rodata,"a",@progbits
	.p2align	6, 0x0
	.amdhsa_kernel bluestein_single_back_len2401_dim1_dp_op_CI_CI
		.amdhsa_group_segment_fixed_size 38416
		.amdhsa_private_segment_fixed_size 2908
		.amdhsa_kernarg_size 104
		.amdhsa_user_sgpr_count 15
		.amdhsa_user_sgpr_dispatch_ptr 0
		.amdhsa_user_sgpr_queue_ptr 0
		.amdhsa_user_sgpr_kernarg_segment_ptr 1
		.amdhsa_user_sgpr_dispatch_id 0
		.amdhsa_user_sgpr_private_segment_size 0
		.amdhsa_wavefront_size32 1
		.amdhsa_uses_dynamic_stack 0
		.amdhsa_enable_private_segment 1
		.amdhsa_system_sgpr_workgroup_id_x 1
		.amdhsa_system_sgpr_workgroup_id_y 0
		.amdhsa_system_sgpr_workgroup_id_z 0
		.amdhsa_system_sgpr_workgroup_info 0
		.amdhsa_system_vgpr_workitem_id 0
		.amdhsa_next_free_vgpr 256
		.amdhsa_next_free_sgpr 29
		.amdhsa_reserve_vcc 1
		.amdhsa_float_round_mode_32 0
		.amdhsa_float_round_mode_16_64 0
		.amdhsa_float_denorm_mode_32 3
		.amdhsa_float_denorm_mode_16_64 3
		.amdhsa_dx10_clamp 1
		.amdhsa_ieee_mode 1
		.amdhsa_fp16_overflow 0
		.amdhsa_workgroup_processor_mode 1
		.amdhsa_memory_ordered 1
		.amdhsa_forward_progress 0
		.amdhsa_shared_vgpr_count 0
		.amdhsa_exception_fp_ieee_invalid_op 0
		.amdhsa_exception_fp_denorm_src 0
		.amdhsa_exception_fp_ieee_div_zero 0
		.amdhsa_exception_fp_ieee_overflow 0
		.amdhsa_exception_fp_ieee_underflow 0
		.amdhsa_exception_fp_ieee_inexact 0
		.amdhsa_exception_int_div_zero 0
	.end_amdhsa_kernel
	.text
.Lfunc_end0:
	.size	bluestein_single_back_len2401_dim1_dp_op_CI_CI, .Lfunc_end0-bluestein_single_back_len2401_dim1_dp_op_CI_CI
                                        ; -- End function
	.section	.AMDGPU.csdata,"",@progbits
; Kernel info:
; codeLenInByte = 72688
; NumSgprs: 31
; NumVgprs: 256
; ScratchSize: 2908
; MemoryBound: 0
; FloatMode: 240
; IeeeMode: 1
; LDSByteSize: 38416 bytes/workgroup (compile time only)
; SGPRBlocks: 3
; VGPRBlocks: 31
; NumSGPRsForWavesPerEU: 31
; NumVGPRsForWavesPerEU: 256
; Occupancy: 2
; WaveLimiterHint : 1
; COMPUTE_PGM_RSRC2:SCRATCH_EN: 1
; COMPUTE_PGM_RSRC2:USER_SGPR: 15
; COMPUTE_PGM_RSRC2:TRAP_HANDLER: 0
; COMPUTE_PGM_RSRC2:TGID_X_EN: 1
; COMPUTE_PGM_RSRC2:TGID_Y_EN: 0
; COMPUTE_PGM_RSRC2:TGID_Z_EN: 0
; COMPUTE_PGM_RSRC2:TIDIG_COMP_CNT: 0
	.text
	.p2alignl 7, 3214868480
	.fill 96, 4, 3214868480
	.type	__hip_cuid_f6b1bfc1553a1db0,@object ; @__hip_cuid_f6b1bfc1553a1db0
	.section	.bss,"aw",@nobits
	.globl	__hip_cuid_f6b1bfc1553a1db0
__hip_cuid_f6b1bfc1553a1db0:
	.byte	0                               ; 0x0
	.size	__hip_cuid_f6b1bfc1553a1db0, 1

	.ident	"AMD clang version 19.0.0git (https://github.com/RadeonOpenCompute/llvm-project roc-6.4.0 25133 c7fe45cf4b819c5991fe208aaa96edf142730f1d)"
	.section	".note.GNU-stack","",@progbits
	.addrsig
	.addrsig_sym __hip_cuid_f6b1bfc1553a1db0
	.amdgpu_metadata
---
amdhsa.kernels:
  - .args:
      - .actual_access:  read_only
        .address_space:  global
        .offset:         0
        .size:           8
        .value_kind:     global_buffer
      - .actual_access:  read_only
        .address_space:  global
        .offset:         8
        .size:           8
        .value_kind:     global_buffer
      - .actual_access:  read_only
        .address_space:  global
        .offset:         16
        .size:           8
        .value_kind:     global_buffer
      - .actual_access:  read_only
        .address_space:  global
        .offset:         24
        .size:           8
        .value_kind:     global_buffer
      - .actual_access:  read_only
        .address_space:  global
        .offset:         32
        .size:           8
        .value_kind:     global_buffer
      - .offset:         40
        .size:           8
        .value_kind:     by_value
      - .address_space:  global
        .offset:         48
        .size:           8
        .value_kind:     global_buffer
      - .address_space:  global
        .offset:         56
        .size:           8
        .value_kind:     global_buffer
      - .address_space:  global
        .offset:         64
        .size:           8
        .value_kind:     global_buffer
      - .address_space:  global
        .offset:         72
        .size:           8
        .value_kind:     global_buffer
      - .offset:         80
        .size:           4
        .value_kind:     by_value
      - .address_space:  global
        .offset:         88
        .size:           8
        .value_kind:     global_buffer
      - .address_space:  global
        .offset:         96
        .size:           8
        .value_kind:     global_buffer
    .group_segment_fixed_size: 38416
    .kernarg_segment_align: 8
    .kernarg_segment_size: 104
    .language:       OpenCL C
    .language_version:
      - 2
      - 0
    .max_flat_workgroup_size: 49
    .name:           bluestein_single_back_len2401_dim1_dp_op_CI_CI
    .private_segment_fixed_size: 2908
    .sgpr_count:     31
    .sgpr_spill_count: 0
    .symbol:         bluestein_single_back_len2401_dim1_dp_op_CI_CI.kd
    .uniform_work_group_size: 1
    .uses_dynamic_stack: false
    .vgpr_count:     256
    .vgpr_spill_count: 823
    .wavefront_size: 32
    .workgroup_processor_mode: 1
amdhsa.target:   amdgcn-amd-amdhsa--gfx1100
amdhsa.version:
  - 1
  - 2
...

	.end_amdgpu_metadata
